;; amdgpu-corpus repo=ROCm/rocFFT kind=compiled arch=gfx1030 opt=O3
	.text
	.amdgcn_target "amdgcn-amd-amdhsa--gfx1030"
	.amdhsa_code_object_version 6
	.protected	bluestein_single_fwd_len1584_dim1_half_op_CI_CI ; -- Begin function bluestein_single_fwd_len1584_dim1_half_op_CI_CI
	.globl	bluestein_single_fwd_len1584_dim1_half_op_CI_CI
	.p2align	8
	.type	bluestein_single_fwd_len1584_dim1_half_op_CI_CI,@function
bluestein_single_fwd_len1584_dim1_half_op_CI_CI: ; @bluestein_single_fwd_len1584_dim1_half_op_CI_CI
; %bb.0:
	s_load_dwordx4 s[8:11], s[4:5], 0x28
	v_mul_u32_u24_e32 v1, 0x175, v0
	v_mov_b32_e32 v17, 0
	s_mov_b32 s0, exec_lo
	v_lshrrev_b32_e32 v1, 16, v1
	v_add_nc_u32_e32 v16, s6, v1
	s_waitcnt lgkmcnt(0)
	v_cmpx_gt_u64_e64 s[8:9], v[16:17]
	s_cbranch_execz .LBB0_39
; %bb.1:
	s_load_dwordx4 s[0:3], s[4:5], 0x18
	v_mul_lo_u16 v1, 0xb0, v1
	v_sub_nc_u16 v7, v0, v1
	v_and_b32_e32 v46, 0xffff, v7
	v_lshlrev_b32_e32 v40, 2, v46
	s_waitcnt lgkmcnt(0)
	s_load_dwordx4 s[12:15], s[0:1], 0x0
	s_load_dwordx2 s[0:1], s[4:5], 0x0
	s_waitcnt lgkmcnt(0)
	v_mad_u64_u32 v[0:1], null, s14, v16, 0
	v_mad_u64_u32 v[2:3], null, s12, v46, 0
	v_add_co_u32 v14, s6, s0, v40
	v_add_co_ci_u32_e64 v15, null, s1, 0, s6
	global_load_dword v49, v40, s[0:1]
	v_add_co_u32 v12, vcc_lo, 0x800, v14
	v_mad_u64_u32 v[4:5], null, s15, v16, v[1:2]
	v_add_co_ci_u32_e32 v13, vcc_lo, 0, v15, vcc_lo
	v_add_co_u32 v10, vcc_lo, 0x1000, v14
	v_add_co_ci_u32_e32 v11, vcc_lo, 0, v15, vcc_lo
	v_mad_u64_u32 v[5:6], null, s13, v46, v[3:4]
	v_mov_b32_e32 v1, v4
	s_clause 0x1
	global_load_dword v48, v40, s[0:1] offset:1584
	global_load_dword v44, v40, s[0:1] offset:704
	s_mul_i32 s1, s13, 0x18c
	s_mul_hi_u32 s6, s12, 0x18c
	s_mul_i32 s0, s12, 0x18c
	v_lshlrev_b64 v[0:1], 2, v[0:1]
	v_mov_b32_e32 v3, v5
	s_add_i32 s1, s6, s1
	s_clause 0x1
	global_load_dword v47, v[12:13], off offset:1120
	global_load_dword v41, v[10:11], off offset:1360
	s_lshl_b64 s[14:15], s[0:1], 2
	s_clause 0x1
	global_load_dword v45, v[10:11], off offset:656
	global_load_dword v42, v[12:13], off offset:1824
	v_lshlrev_b64 v[2:3], 2, v[2:3]
	v_add_co_u32 v0, vcc_lo, s10, v0
	v_add_co_ci_u32_e32 v1, vcc_lo, s11, v1, vcc_lo
	s_mul_hi_u32 s8, s12, 0xfffffc0c
	v_add_co_u32 v0, vcc_lo, v0, v2
	v_add_co_ci_u32_e32 v1, vcc_lo, v1, v3, vcc_lo
	s_mul_i32 s7, s13, 0xfffffc0c
	v_add_co_u32 v2, vcc_lo, v0, s14
	v_add_co_ci_u32_e32 v3, vcc_lo, s15, v1, vcc_lo
	global_load_dword v4, v[0:1], off
	s_sub_i32 s1, s8, s12
	s_mul_i32 s0, s12, 0xfffffc0c
	global_load_dword v5, v[2:3], off
	v_add_co_u32 v0, vcc_lo, v2, s14
	v_add_co_ci_u32_e32 v1, vcc_lo, s15, v3, vcc_lo
	s_add_i32 s1, s1, s7
	s_load_dwordx2 s[6:7], s[4:5], 0x38
	s_lshl_b64 s[0:1], s[0:1], 2
	global_load_dword v6, v[0:1], off
	v_add_co_u32 v0, vcc_lo, v0, s14
	v_add_co_ci_u32_e32 v1, vcc_lo, s15, v1, vcc_lo
	v_add_co_u32 v2, vcc_lo, v0, s0
	v_add_co_ci_u32_e32 v3, vcc_lo, s1, v1, vcc_lo
	s_clause 0x1
	global_load_dword v8, v[0:1], off
	global_load_dword v9, v[2:3], off
	v_add_co_u32 v0, vcc_lo, v2, s14
	v_add_co_ci_u32_e32 v1, vcc_lo, s15, v3, vcc_lo
	v_add_co_u32 v2, vcc_lo, v0, s14
	v_add_co_ci_u32_e32 v3, vcc_lo, s15, v1, vcc_lo
	global_load_dword v17, v[0:1], off
	v_add_co_u32 v0, vcc_lo, v2, s14
	v_add_co_ci_u32_e32 v1, vcc_lo, s15, v3, vcc_lo
	global_load_dword v43, v[12:13], off offset:240
	global_load_dword v2, v[2:3], off
	global_load_dword v3, v[0:1], off
	s_load_dwordx4 s[8:11], s[2:3], 0x0
	v_cmp_gt_u16_e32 vcc_lo, 44, v7
	s_waitcnt vmcnt(8)
	v_lshrrev_b32_e32 v18, 16, v4
	v_mul_f16_sdwa v19, v49, v4 dst_sel:DWORD dst_unused:UNUSED_PAD src0_sel:WORD_1 src1_sel:DWORD
	s_waitcnt vmcnt(7)
	v_lshrrev_b32_e32 v21, 16, v5
	v_mul_f16_sdwa v22, v48, v5 dst_sel:DWORD dst_unused:UNUSED_PAD src0_sel:WORD_1 src1_sel:DWORD
	v_mul_f16_sdwa v20, v49, v18 dst_sel:DWORD dst_unused:UNUSED_PAD src0_sel:WORD_1 src1_sel:DWORD
	v_fma_f16 v18, v49, v18, -v19
	v_fmac_f16_e32 v20, v49, v4
	v_mul_f16_sdwa v4, v48, v21 dst_sel:DWORD dst_unused:UNUSED_PAD src0_sel:WORD_1 src1_sel:DWORD
	s_waitcnt vmcnt(6)
	v_lshrrev_b32_e32 v19, 16, v6
	v_fma_f16 v21, v48, v21, -v22
	v_mul_f16_sdwa v22, v47, v6 dst_sel:DWORD dst_unused:UNUSED_PAD src0_sel:WORD_1 src1_sel:DWORD
	v_pack_b32_f16 v18, v20, v18
	v_fmac_f16_e32 v4, v48, v5
	v_mul_f16_sdwa v5, v47, v19 dst_sel:DWORD dst_unused:UNUSED_PAD src0_sel:WORD_1 src1_sel:DWORD
	v_fma_f16 v19, v47, v19, -v22
	s_waitcnt vmcnt(5)
	v_lshrrev_b32_e32 v20, 16, v8
	v_mul_f16_sdwa v23, v45, v8 dst_sel:DWORD dst_unused:UNUSED_PAD src0_sel:WORD_1 src1_sel:DWORD
	v_pack_b32_f16 v4, v4, v21
	v_fmac_f16_e32 v5, v47, v6
	s_waitcnt vmcnt(4)
	v_lshrrev_b32_e32 v21, 16, v9
	v_mul_f16_sdwa v6, v45, v20 dst_sel:DWORD dst_unused:UNUSED_PAD src0_sel:WORD_1 src1_sel:DWORD
	v_fma_f16 v20, v45, v20, -v23
	v_mul_f16_sdwa v22, v44, v9 dst_sel:DWORD dst_unused:UNUSED_PAD src0_sel:WORD_1 src1_sel:DWORD
	ds_write_b32 v40, v4 offset:1584
	v_pack_b32_f16 v4, v5, v19
	v_fmac_f16_e32 v6, v45, v8
	v_mul_f16_sdwa v5, v44, v21 dst_sel:DWORD dst_unused:UNUSED_PAD src0_sel:WORD_1 src1_sel:DWORD
	v_fma_f16 v8, v44, v21, -v22
	s_waitcnt vmcnt(3)
	v_lshrrev_b32_e32 v19, 16, v17
	ds_write_b32 v40, v4 offset:3168
	v_pack_b32_f16 v4, v6, v20
	v_fmac_f16_e32 v5, v44, v9
	s_waitcnt vmcnt(2)
	v_mul_f16_sdwa v21, v43, v17 dst_sel:DWORD dst_unused:UNUSED_PAD src0_sel:WORD_1 src1_sel:DWORD
	s_waitcnt vmcnt(1)
	v_lshrrev_b32_e32 v6, 16, v2
	s_waitcnt vmcnt(0)
	v_lshrrev_b32_e32 v9, 16, v3
	v_mul_f16_sdwa v20, v43, v19 dst_sel:DWORD dst_unused:UNUSED_PAD src0_sel:WORD_1 src1_sel:DWORD
	v_mul_f16_sdwa v24, v41, v3 dst_sel:DWORD dst_unused:UNUSED_PAD src0_sel:WORD_1 src1_sel:DWORD
	v_fma_f16 v19, v43, v19, -v21
	v_mul_f16_sdwa v21, v42, v2 dst_sel:DWORD dst_unused:UNUSED_PAD src0_sel:WORD_1 src1_sel:DWORD
	v_mul_f16_sdwa v22, v42, v6 dst_sel:DWORD dst_unused:UNUSED_PAD src0_sel:WORD_1 src1_sel:DWORD
	;; [unrolled: 1-line block ×3, first 2 shown]
	v_fmac_f16_e32 v20, v43, v17
	ds_write_b32 v40, v4 offset:4752
	v_fma_f16 v6, v42, v6, -v21
	v_fmac_f16_e32 v22, v42, v2
	v_fmac_f16_e32 v23, v41, v3
	v_fma_f16 v2, v41, v9, -v24
	v_pack_b32_f16 v3, v5, v8
	v_pack_b32_f16 v4, v20, v19
	;; [unrolled: 1-line block ×4, first 2 shown]
	ds_write2_b32 v40, v18, v3 offset1:176
	ds_write_b32 v40, v4 offset:2288
	ds_write_b32 v40, v5 offset:3872
	ds_write_b32 v40, v2 offset:5456
	s_and_saveexec_b32 s2, vcc_lo
	s_cbranch_execz .LBB0_3
; %bb.2:
	v_add_co_u32 v0, s0, v0, s0
	v_add_co_ci_u32_e64 v1, s0, s1, v1, s0
	global_load_dword v6, v[14:15], off offset:1408
	v_add_co_u32 v2, s0, v0, s14
	v_add_co_ci_u32_e64 v3, s0, s15, v1, s0
	global_load_dword v7, v[0:1], off
	v_add_co_u32 v4, s0, v2, s14
	v_add_co_ci_u32_e64 v5, s0, s15, v3, s0
	v_add_co_u32 v0, s0, v4, s14
	v_add_co_ci_u32_e64 v1, s0, s15, v5, s0
	global_load_dword v2, v[2:3], off
	global_load_dword v3, v[12:13], off offset:944
	global_load_dword v4, v[4:5], off
	global_load_dword v5, v[0:1], off
	v_add_co_u32 v0, s0, 0x1800, v14
	v_add_co_ci_u32_e64 v1, s0, 0, v15, s0
	s_clause 0x1
	global_load_dword v8, v[10:11], off offset:480
	global_load_dword v0, v[0:1], off offset:16
	s_waitcnt vmcnt(6)
	v_lshrrev_b32_e32 v1, 16, v7
	v_mul_f16_sdwa v9, v6, v7 dst_sel:DWORD dst_unused:UNUSED_PAD src0_sel:WORD_1 src1_sel:DWORD
	v_mul_f16_sdwa v17, v6, v1 dst_sel:DWORD dst_unused:UNUSED_PAD src0_sel:WORD_1 src1_sel:DWORD
	v_fma_f16 v1, v6, v1, -v9
	s_waitcnt vmcnt(5)
	v_lshrrev_b32_e32 v9, 16, v2
	s_waitcnt vmcnt(4)
	v_mul_f16_sdwa v18, v3, v2 dst_sel:DWORD dst_unused:UNUSED_PAD src0_sel:WORD_1 src1_sel:DWORD
	v_fmac_f16_e32 v17, v6, v7
	s_waitcnt vmcnt(3)
	v_lshrrev_b32_e32 v6, 16, v4
	s_waitcnt vmcnt(2)
	v_lshrrev_b32_e32 v7, 16, v5
	v_mul_f16_sdwa v19, v3, v9 dst_sel:DWORD dst_unused:UNUSED_PAD src0_sel:WORD_1 src1_sel:DWORD
	v_fma_f16 v9, v3, v9, -v18
	v_pack_b32_f16 v1, v17, v1
	s_waitcnt vmcnt(1)
	v_mul_f16_sdwa v18, v8, v4 dst_sel:DWORD dst_unused:UNUSED_PAD src0_sel:WORD_1 src1_sel:DWORD
	v_mul_f16_sdwa v20, v8, v6 dst_sel:DWORD dst_unused:UNUSED_PAD src0_sel:WORD_1 src1_sel:DWORD
	s_waitcnt vmcnt(0)
	v_mul_f16_sdwa v21, v0, v7 dst_sel:DWORD dst_unused:UNUSED_PAD src0_sel:WORD_1 src1_sel:DWORD
	v_mul_f16_sdwa v22, v0, v5 dst_sel:DWORD dst_unused:UNUSED_PAD src0_sel:WORD_1 src1_sel:DWORD
	v_fmac_f16_e32 v19, v3, v2
	v_fma_f16 v2, v8, v6, -v18
	v_fmac_f16_e32 v20, v8, v4
	v_fmac_f16_e32 v21, v0, v5
	v_fma_f16 v0, v0, v7, -v22
	v_pack_b32_f16 v3, v19, v9
	v_pack_b32_f16 v2, v20, v2
	;; [unrolled: 1-line block ×3, first 2 shown]
	ds_write_b32 v40, v1 offset:1408
	ds_write_b32 v40, v3 offset:2992
	;; [unrolled: 1-line block ×4, first 2 shown]
.LBB0_3:
	s_or_b32 exec_lo, exec_lo, s2
	v_add_nc_u32_e32 v2, 0x600, v40
	v_add_nc_u32_e32 v4, 0xc00, v40
	;; [unrolled: 1-line block ×3, first 2 shown]
	s_waitcnt lgkmcnt(0)
	s_barrier
	buffer_gl0_inv
	ds_read2_b32 v[0:1], v40 offset1:176
	ds_read2_b32 v[2:3], v2 offset0:12 offset1:188
	ds_read2_b32 v[6:7], v4 offset0:24 offset1:200
	;; [unrolled: 1-line block ×3, first 2 shown]
                                        ; implicit-def: $vgpr8
                                        ; implicit-def: $vgpr17
                                        ; implicit-def: $vgpr9
                                        ; implicit-def: $vgpr18
	s_and_saveexec_b32 s0, vcc_lo
	s_cbranch_execz .LBB0_5
; %bb.4:
	ds_read_b32 v8, v40 offset:1408
	ds_read_b32 v9, v40 offset:2992
	;; [unrolled: 1-line block ×4, first 2 shown]
.LBB0_5:
	s_or_b32 exec_lo, exec_lo, s0
	s_waitcnt lgkmcnt(1)
	v_pk_add_f16 v21, v0, v6 neg_lo:[0,1] neg_hi:[0,1]
	v_pk_add_f16 v7, v1, v7 neg_lo:[0,1] neg_hi:[0,1]
	;; [unrolled: 1-line block ×3, first 2 shown]
	s_waitcnt lgkmcnt(0)
	v_pk_add_f16 v18, v9, v18 neg_lo:[0,1] neg_hi:[0,1]
	v_pk_add_f16 v5, v3, v5 neg_lo:[0,1] neg_hi:[0,1]
	s_load_dwordx2 s[2:3], s[4:5], 0x8
	v_pk_add_f16 v4, v2, v4 neg_lo:[0,1] neg_hi:[0,1]
	v_lshrrev_b32_e32 v6, 16, v21
	v_lshrrev_b32_e32 v19, 16, v7
	v_pk_fma_f16 v22, v8, 2.0, v17 op_sel_hi:[1,0,1] neg_lo:[0,0,1] neg_hi:[0,0,1]
	v_pk_fma_f16 v8, v9, 2.0, v18 op_sel_hi:[1,0,1] neg_lo:[0,0,1] neg_hi:[0,0,1]
	v_sub_f16_sdwa v27, v7, v5 dst_sel:DWORD dst_unused:UNUSED_PAD src0_sel:DWORD src1_sel:WORD_1
	v_lshrrev_b32_e32 v25, 16, v17
	v_sub_f16_sdwa v23, v21, v4 dst_sel:DWORD dst_unused:UNUSED_PAD src0_sel:DWORD src1_sel:WORD_1
	v_add_f16_e32 v24, v6, v4
	v_add_f16_e32 v28, v19, v5
	v_sub_f16_sdwa v61, v17, v18 dst_sel:DWORD dst_unused:UNUSED_PAD src0_sel:DWORD src1_sel:WORD_1
	v_pk_fma_f16 v0, v0, 2.0, v21 op_sel_hi:[1,0,1] neg_lo:[0,0,1] neg_hi:[0,0,1]
	v_pk_fma_f16 v2, v2, 2.0, v4 op_sel_hi:[1,0,1] neg_lo:[0,0,1] neg_hi:[0,0,1]
	v_pk_add_f16 v8, v22, v8 neg_lo:[0,1] neg_hi:[0,1]
	v_fma_f16 v30, v7, 2.0, -v27
	v_add_f16_e32 v62, v18, v25
	v_pk_fma_f16 v7, v1, 2.0, v7 op_sel_hi:[1,0,1] neg_lo:[0,0,1] neg_hi:[0,0,1]
	v_pk_fma_f16 v1, v3, 2.0, v5 op_sel_hi:[1,0,1] neg_lo:[0,0,1] neg_hi:[0,0,1]
	v_add_co_u32 v20, null, 0xb0, v46
	v_add_co_u32 v29, null, 0x160, v46
	v_fma_f16 v9, v21, 2.0, -v23
	v_fma_f16 v26, v6, 2.0, -v24
	;; [unrolled: 1-line block ×4, first 2 shown]
	v_lshlrev_b16 v4, 2, v46
	v_mov_b32_e32 v17, 2
	v_pk_add_f16 v2, v0, v2 neg_lo:[0,1] neg_hi:[0,1]
	v_pk_fma_f16 v6, v22, 2.0, v8 op_sel_hi:[1,0,1] neg_lo:[0,0,1] neg_hi:[0,0,1]
	v_fma_f16 v22, v25, 2.0, -v62
	v_pk_add_f16 v25, v7, v1 neg_lo:[0,1] neg_hi:[0,1]
	v_lshlrev_b32_sdwa v55, v17, v4 dst_sel:DWORD dst_unused:UNUSED_PAD src0_sel:DWORD src1_sel:WORD_0
	v_pk_fma_f16 v0, v0, 2.0, v2 op_sel_hi:[1,0,1] neg_lo:[0,0,1] neg_hi:[0,0,1]
	v_pack_b32_f16 v3, v23, v24
	v_pack_b32_f16 v1, v9, v26
	v_lshlrev_b32_e32 v56, 4, v20
	v_lshlrev_b32_e32 v54, 4, v29
	v_pk_fma_f16 v23, v7, 2.0, v25 op_sel_hi:[1,0,1] neg_lo:[0,0,1] neg_hi:[0,0,1]
	v_pack_b32_f16 v26, v27, v28
	v_pack_b32_f16 v24, v30, v31
	s_waitcnt lgkmcnt(0)
	s_barrier
	buffer_gl0_inv
	ds_write_b128 v55, v[0:3]
	ds_write_b128 v56, v[23:26]
	s_and_saveexec_b32 s0, vcc_lo
	s_cbranch_execz .LBB0_7
; %bb.6:
	v_perm_b32 v9, v62, v61, 0x5040100
	v_perm_b32 v7, v22, v19, 0x5040100
	ds_write_b128 v54, v[6:9]
.LBB0_7:
	s_or_b32 exec_lo, exec_lo, s0
	v_add_nc_u32_e32 v0, 0xc00, v40
	v_add_nc_u32_e32 v1, 0x500, v40
	;; [unrolled: 1-line block ×3, first 2 shown]
	s_waitcnt lgkmcnt(0)
	s_barrier
	buffer_gl0_inv
	ds_read2_b32 v[2:3], v40 offset1:176
	ds_read2_b32 v[17:18], v0 offset0:24 offset1:200
	ds_read2_b32 v[0:1], v1 offset0:32 offset1:208
	;; [unrolled: 1-line block ×3, first 2 shown]
	v_cmp_gt_u16_e64 s0, 0x58, v46
	s_and_saveexec_b32 s1, s0
	s_cbranch_execz .LBB0_9
; %bb.8:
	ds_read_b32 v19, v40 offset:5984
	ds_read_b32 v6, v40 offset:2816
	s_waitcnt lgkmcnt(1)
	v_lshrrev_b32_e32 v22, 16, v19
.LBB0_9:
	s_or_b32 exec_lo, exec_lo, s1
	v_and_b32_e32 v38, 3, v46
	v_lshlrev_b32_e32 v30, 1, v46
	v_add_co_u32 v32, null, 0x2c0, v46
	v_lshlrev_b32_e32 v9, 1, v20
	v_lshlrev_b32_e32 v7, 2, v38
	v_add_nc_u32_e32 v21, 0x420, v30
	v_lshlrev_b32_e32 v20, 1, v29
	s_waitcnt lgkmcnt(2)
	v_lshrrev_b32_e32 v23, 16, v17
	v_and_or_b32 v34, 0x1f8, v30, v38
	global_load_dword v39, v7, s[2:3]
	v_lshlrev_b32_e32 v52, 1, v32
	v_and_or_b32 v32, 0x7f8, v21, v38
	v_lshrrev_b32_e32 v25, 16, v18
	v_and_or_b32 v35, 0x3f8, v9, v38
	v_and_or_b32 v36, 0x7f8, v20, v38
	s_waitcnt lgkmcnt(0)
	v_lshrrev_b32_e32 v27, 16, v4
	v_lshrrev_b32_e32 v31, 16, v5
	v_lshlrev_b32_e32 v57, 2, v34
	v_lshlrev_b32_e32 v60, 2, v32
	;; [unrolled: 1-line block ×4, first 2 shown]
	v_lshrrev_b32_e32 v7, 16, v2
	v_lshrrev_b32_e32 v24, 16, v3
	;; [unrolled: 1-line block ×5, first 2 shown]
	s_waitcnt vmcnt(0)
	s_barrier
	buffer_gl0_inv
	v_mul_f16_sdwa v32, v23, v39 dst_sel:DWORD dst_unused:UNUSED_PAD src0_sel:DWORD src1_sel:WORD_1
	v_mul_f16_sdwa v34, v17, v39 dst_sel:DWORD dst_unused:UNUSED_PAD src0_sel:DWORD src1_sel:WORD_1
	;; [unrolled: 1-line block ×10, first 2 shown]
	v_fma_f16 v17, v17, v39, -v32
	v_fmac_f16_e32 v34, v23, v39
	v_fma_f16 v18, v18, v39, -v35
	v_fmac_f16_e32 v36, v25, v39
	;; [unrolled: 2-line block ×5, first 2 shown]
	v_sub_f16_e32 v23, v2, v17
	v_sub_f16_e32 v25, v7, v34
	;; [unrolled: 1-line block ×10, first 2 shown]
	v_fma_f16 v2, v2, 2.0, -v23
	v_fma_f16 v7, v7, 2.0, -v25
	;; [unrolled: 1-line block ×9, first 2 shown]
	v_pack_b32_f16 v6, v23, v25
	v_pack_b32_f16 v23, v18, v27
	;; [unrolled: 1-line block ×3, first 2 shown]
	v_fma_f16 v18, v33, 2.0, -v22
	v_pack_b32_f16 v3, v3, v24
	v_pack_b32_f16 v4, v4, v31
	;; [unrolled: 1-line block ×5, first 2 shown]
	ds_write2_b32 v57, v2, v6 offset1:4
	ds_write2_b32 v58, v3, v23 offset1:4
	;; [unrolled: 1-line block ×4, first 2 shown]
	s_and_saveexec_b32 s1, s0
	s_cbranch_execz .LBB0_11
; %bb.10:
	v_and_or_b32 v0, 0x7f8, v52, v38
	v_perm_b32 v1, v18, v17, 0x5040100
	v_perm_b32 v2, v22, v19, 0x5040100
	v_lshlrev_b32_e32 v0, 2, v0
	ds_write2_b32 v0, v1, v2 offset1:4
.LBB0_11:
	s_or_b32 exec_lo, exec_lo, s1
	v_add_nc_u32_e32 v0, 0xc00, v40
	v_add_nc_u32_e32 v1, 0x500, v40
	v_add_nc_u32_e32 v4, 0x1100, v40
	s_waitcnt lgkmcnt(0)
	s_barrier
	buffer_gl0_inv
	ds_read2_b32 v[2:3], v40 offset1:176
	ds_read2_b32 v[6:7], v0 offset0:24 offset1:200
	ds_read2_b32 v[0:1], v1 offset0:32 offset1:208
	;; [unrolled: 1-line block ×3, first 2 shown]
	s_and_saveexec_b32 s1, s0
	s_cbranch_execz .LBB0_13
; %bb.12:
	ds_read_b32 v17, v40 offset:2816
	ds_read_b32 v19, v40 offset:5984
	s_waitcnt lgkmcnt(1)
	v_lshrrev_b32_e32 v18, 16, v17
	s_waitcnt lgkmcnt(0)
	v_lshrrev_b32_e32 v22, 16, v19
.LBB0_13:
	s_or_b32 exec_lo, exec_lo, s1
	v_and_b32_e32 v53, 7, v46
	s_waitcnt lgkmcnt(2)
	v_lshrrev_b32_e32 v24, 16, v6
	v_lshrrev_b32_e32 v26, 16, v7
	s_waitcnt lgkmcnt(0)
	v_lshrrev_b32_e32 v27, 16, v4
	v_lshrrev_b32_e32 v28, 16, v5
	v_lshlrev_b32_e32 v23, 2, v53
	v_and_or_b32 v20, 0x7f0, v20, v53
	v_and_or_b32 v21, 0x7f0, v21, v53
	;; [unrolled: 1-line block ×4, first 2 shown]
	global_load_dword v63, v23, s[2:3] offset:16
	v_lshlrev_b32_e32 v66, 2, v20
	v_lshlrev_b32_e32 v67, 2, v21
	;; [unrolled: 1-line block ×4, first 2 shown]
	v_lshrrev_b32_e32 v23, 16, v2
	v_lshrrev_b32_e32 v25, 16, v3
	;; [unrolled: 1-line block ×4, first 2 shown]
	s_waitcnt vmcnt(0)
	s_barrier
	buffer_gl0_inv
	v_mul_f16_sdwa v20, v24, v63 dst_sel:DWORD dst_unused:UNUSED_PAD src0_sel:DWORD src1_sel:WORD_1
	v_mul_f16_sdwa v21, v6, v63 dst_sel:DWORD dst_unused:UNUSED_PAD src0_sel:DWORD src1_sel:WORD_1
	;; [unrolled: 1-line block ×10, first 2 shown]
	v_fma_f16 v6, v6, v63, -v20
	v_fmac_f16_e32 v21, v24, v63
	v_fma_f16 v7, v7, v63, -v31
	v_fmac_f16_e32 v34, v26, v63
	;; [unrolled: 2-line block ×5, first 2 shown]
	v_sub_f16_e32 v20, v2, v6
	v_sub_f16_e32 v72, v23, v21
	;; [unrolled: 1-line block ×10, first 2 shown]
	v_fma_f16 v19, v2, 2.0, -v20
	v_fma_f16 v31, v23, 2.0, -v72
	;; [unrolled: 1-line block ×9, first 2 shown]
	v_pack_b32_f16 v0, v20, v72
	v_pack_b32_f16 v4, v19, v31
	v_fma_f16 v82, v18, 2.0, -v51
	v_pack_b32_f16 v1, v22, v71
	v_pack_b32_f16 v5, v21, v76
	;; [unrolled: 1-line block ×6, first 2 shown]
	ds_write2_b32 v64, v4, v0 offset1:8
	ds_write2_b32 v65, v5, v1 offset1:8
	;; [unrolled: 1-line block ×4, first 2 shown]
	s_and_saveexec_b32 s1, s0
	s_cbranch_execz .LBB0_15
; %bb.14:
	v_and_or_b32 v0, 0x7f0, v52, v53
	v_perm_b32 v1, v82, v23, 0x5040100
	v_perm_b32 v2, v51, v24, 0x5040100
	v_lshlrev_b32_e32 v0, 2, v0
	ds_write2_b32 v0, v1, v2 offset1:8
.LBB0_15:
	s_or_b32 exec_lo, exec_lo, s1
	v_cmp_gt_u16_e64 s1, 0x90, v46
	s_waitcnt lgkmcnt(0)
	s_barrier
	buffer_gl0_inv
	s_and_saveexec_b32 s4, s1
	s_cbranch_execz .LBB0_17
; %bb.16:
	v_add_nc_u32_e32 v0, 0x400, v40
	v_add_nc_u32_e32 v1, 0x800, v40
	;; [unrolled: 1-line block ×3, first 2 shown]
	ds_read2_b32 v[19:20], v40 offset1:144
	ds_read2_b32 v[21:22], v0 offset0:32 offset1:176
	v_add_nc_u32_e32 v0, 0x1200, v40
	ds_read2_b32 v[27:28], v1 offset0:64 offset1:208
	ds_read2_b32 v[25:26], v2 offset0:96 offset1:240
	ds_read2_b32 v[23:24], v0 offset1:144
	ds_read_b32 v8, v40 offset:5760
	s_waitcnt lgkmcnt(5)
	v_lshrrev_b32_e32 v31, 16, v19
	v_lshrrev_b32_e32 v72, 16, v20
	s_waitcnt lgkmcnt(4)
	v_lshrrev_b32_e32 v76, 16, v21
	v_lshrrev_b32_e32 v71, 16, v22
	;; [unrolled: 3-line block ×5, first 2 shown]
.LBB0_17:
	s_or_b32 exec_lo, exec_lo, s4
	v_and_b32_e32 v50, 15, v46
	s_waitcnt lgkmcnt(0)
	v_lshrrev_b32_e32 v83, 16, v8
	v_mad_u64_u32 v[17:18], null, v50, 40, s[2:3]
	s_clause 0x2
	global_load_dwordx4 v[4:7], v[17:18], off offset:48
	global_load_dwordx4 v[0:3], v[17:18], off offset:64
	global_load_dwordx2 v[17:18], v[17:18], off offset:80
	s_waitcnt vmcnt(0)
	s_barrier
	buffer_gl0_inv
	v_mul_f16_sdwa v77, v72, v4 dst_sel:DWORD dst_unused:UNUSED_PAD src0_sel:DWORD src1_sel:WORD_1
	v_mul_f16_sdwa v75, v20, v4 dst_sel:DWORD dst_unused:UNUSED_PAD src0_sel:DWORD src1_sel:WORD_1
	;; [unrolled: 1-line block ×9, first 2 shown]
	v_fma_f16 v79, v20, v4, -v77
	v_fmac_f16_e32 v75, v72, v4
	v_fma_f16 v8, v8, v18, -v91
	v_fmac_f16_e32 v32, v83, v18
	v_mul_f16_sdwa v84, v71, v6 dst_sel:DWORD dst_unused:UNUSED_PAD src0_sel:DWORD src1_sel:WORD_1
	v_mul_f16_sdwa v73, v22, v6 dst_sel:DWORD dst_unused:UNUSED_PAD src0_sel:DWORD src1_sel:WORD_1
	;; [unrolled: 1-line block ×4, first 2 shown]
	v_fma_f16 v78, v21, v5, -v78
	v_fmac_f16_e32 v74, v76, v5
	v_fma_f16 v76, v27, v7, -v85
	v_fma_f16 v21, v24, v17, -v90
	v_fmac_f16_e32 v33, v51, v17
	v_sub_f16_e32 v85, v79, v8
	v_sub_f16_e32 v106, v75, v32
	v_mul_f16_sdwa v68, v27, v7 dst_sel:DWORD dst_unused:UNUSED_PAD src0_sel:DWORD src1_sel:WORD_1
	v_mul_f16_sdwa v37, v28, v0 dst_sel:DWORD dst_unused:UNUSED_PAD src0_sel:DWORD src1_sel:WORD_1
	;; [unrolled: 1-line block ×4, first 2 shown]
	v_fma_f16 v77, v22, v6, -v84
	v_fmac_f16_e32 v73, v71, v6
	v_fma_f16 v20, v23, v3, -v89
	v_fmac_f16_e32 v34, v82, v3
	v_add_f16_e32 v24, v79, v8
	v_add_f16_e32 v111, v75, v32
	v_sub_f16_e32 v92, v78, v21
	v_sub_f16_e32 v107, v74, v33
	v_mul_f16_e32 v90, 0xb853, v106
	v_mul_f16_e32 v93, 0xb853, v85
	;; [unrolled: 1-line block ×4, first 2 shown]
	v_mul_f16_sdwa v86, v70, v0 dst_sel:DWORD dst_unused:UNUSED_PAD src0_sel:DWORD src1_sel:WORD_1
	v_mul_f16_sdwa v87, v80, v1 dst_sel:DWORD dst_unused:UNUSED_PAD src0_sel:DWORD src1_sel:WORD_1
	;; [unrolled: 1-line block ×3, first 2 shown]
	v_fmac_f16_e32 v68, v81, v7
	v_fmac_f16_e32 v37, v70, v0
	v_fma_f16 v22, v26, v2, -v88
	v_fmac_f16_e32 v35, v69, v2
	v_add_f16_e32 v26, v78, v21
	v_add_f16_e32 v112, v74, v33
	v_sub_f16_e32 v94, v77, v20
	v_sub_f16_e32 v109, v73, v34
	v_mul_f16_e32 v88, 0xbb47, v107
	v_mul_f16_e32 v91, 0xbb47, v92
	;; [unrolled: 1-line block ×4, first 2 shown]
	v_fmamk_f16 v51, v24, 0x3abb, v90
	v_fma_f16 v69, v111, 0x3abb, -v93
	v_fmamk_f16 v70, v24, 0x36a6, v100
	v_fma_f16 v71, v111, 0x36a6, -v105
	v_fma_f16 v27, v28, v0, -v86
	;; [unrolled: 1-line block ×3, first 2 shown]
	v_fmac_f16_e32 v36, v80, v1
	v_add_f16_e32 v28, v77, v20
	v_add_f16_e32 v113, v73, v34
	v_sub_f16_e32 v95, v76, v22
	v_sub_f16_e32 v110, v68, v35
	v_mul_f16_e32 v86, 0xbbeb, v109
	v_mul_f16_e32 v89, 0xbbeb, v94
	;; [unrolled: 1-line block ×4, first 2 shown]
	v_fmamk_f16 v72, v26, 0x36a6, v88
	v_fma_f16 v116, v112, 0x36a6, -v91
	v_fmamk_f16 v117, v26, 0xb93d, v99
	v_fma_f16 v118, v112, 0xb93d, -v104
	v_add_f16_e32 v51, v19, v51
	v_add_f16_e32 v69, v31, v69
	;; [unrolled: 1-line block ×6, first 2 shown]
	v_sub_f16_e32 v108, v37, v36
	v_sub_f16_e32 v102, v27, v25
	v_mul_f16_e32 v83, 0xba0c, v110
	v_mul_f16_e32 v87, 0xba0c, v95
	v_mul_f16_e32 v96, 0x3beb, v110
	v_mul_f16_e32 v101, 0x3beb, v95
	v_fmamk_f16 v119, v28, 0xb08e, v86
	v_fma_f16 v120, v113, 0xb08e, -v89
	v_fmamk_f16 v121, v28, 0xbbad, v98
	v_fma_f16 v122, v113, 0xbbad, -v103
	v_add_f16_e32 v51, v72, v51
	v_add_f16_e32 v69, v116, v69
	v_add_f16_e32 v70, v117, v70
	v_add_f16_e32 v71, v118, v71
	v_add_f16_e32 v23, v27, v25
	v_add_f16_e32 v115, v37, v36
	v_mul_f16_e32 v82, 0xb482, v108
	v_mul_f16_e32 v84, 0xb482, v102
	;; [unrolled: 1-line block ×4, first 2 shown]
	v_fmamk_f16 v123, v81, 0xb93d, v83
	v_fma_f16 v124, v114, 0xb93d, -v87
	v_fmamk_f16 v125, v81, 0xb08e, v96
	v_fma_f16 v126, v114, 0xb08e, -v101
	v_add_f16_e32 v51, v119, v51
	v_add_f16_e32 v69, v120, v69
	;; [unrolled: 1-line block ×4, first 2 shown]
	v_fmamk_f16 v127, v23, 0xbbad, v82
	v_fma_f16 v128, v115, 0xbbad, -v84
	v_fmamk_f16 v116, v23, 0x3abb, v80
	v_fma_f16 v117, v115, 0x3abb, -v97
	v_add_f16_e32 v51, v123, v51
	v_add_f16_e32 v69, v124, v69
	;; [unrolled: 1-line block ×8, first 2 shown]
	v_lshrrev_b32_e32 v51, 4, v46
	s_and_saveexec_b32 s4, s1
	s_cbranch_execz .LBB0_19
; %bb.18:
	v_mul_f16_e32 v125, 0xb08e, v111
	v_mul_f16_e32 v131, 0xbbad, v112
	;; [unrolled: 1-line block ×5, first 2 shown]
	v_fmamk_f16 v130, v85, 0x3beb, v125
	v_fmamk_f16 v135, v92, 0xb482, v131
	;; [unrolled: 1-line block ×3, first 2 shown]
	v_mul_f16_e32 v140, 0x3abb, v114
	v_fmamk_f16 v145, v26, 0xbbad, v143
	v_add_f16_e32 v130, v31, v130
	v_mul_f16_e32 v146, 0x3b47, v109
	v_add_f16_e32 v142, v19, v142
	v_mul_f16_e32 v148, 0xb853, v110
	v_mul_f16_e32 v147, 0xb93d, v111
	v_add_f16_e32 v130, v135, v130
	v_fmamk_f16 v135, v94, 0xbb47, v136
	v_add_f16_e32 v142, v145, v142
	v_fmamk_f16 v145, v28, 0x36a6, v146
	v_fmamk_f16 v150, v85, 0x3a0c, v147
	v_mul_f16_e32 v151, 0xb08e, v112
	v_add_f16_e32 v130, v135, v130
	v_fmamk_f16 v135, v95, 0x3853, v140
	v_add_f16_e32 v142, v145, v142
	v_fmamk_f16 v145, v81, 0x3abb, v148
	v_mul_f16_e32 v153, 0xba0c, v106
	v_mul_f16_e32 v152, 0x3abb, v113
	v_add_f16_e32 v130, v135, v130
	v_mul_f16_e32 v135, 0xb93d, v115
	v_add_f16_e32 v142, v145, v142
	v_mul_f16_e32 v145, 0xba0c, v108
	v_fmamk_f16 v156, v24, 0xb93d, v153
	v_mul_f16_e32 v157, 0x3beb, v107
	v_fmamk_f16 v149, v102, 0x3a0c, v135
	v_mul_f16_e32 v154, 0xbbad, v114
	v_fmamk_f16 v155, v23, 0xb93d, v145
	v_mul_f16_e32 v158, 0xb853, v109
	v_mul_f16_e32 v159, 0xb482, v110
	v_add_f16_e32 v130, v149, v130
	v_add_f16_e32 v149, v31, v150
	v_fmamk_f16 v150, v92, 0xbbeb, v151
	v_add_f16_e32 v142, v155, v142
	v_add_f16_e32 v155, v19, v156
	v_fmamk_f16 v156, v26, 0xb08e, v157
	v_mul_f16_e32 v117, 0x3abb, v111
	v_add_f16_e32 v149, v150, v149
	v_fmamk_f16 v150, v94, 0x3853, v152
	v_mul_f16_e32 v119, 0x36a6, v111
	;; [unrolled: 3-line block ×5, first 2 shown]
	v_add_f16_e32 v149, v150, v149
	v_mul_f16_e32 v150, 0x36a6, v115
	v_fmamk_f16 v161, v85, 0x3482, v111
	v_mul_f16_e32 v112, 0x3abb, v112
	v_add_f16_e32 v155, v156, v155
	v_mul_f16_e32 v156, 0x3b47, v108
	v_fmamk_f16 v160, v102, 0xbb47, v150
	v_mul_f16_e32 v106, 0xb482, v106
	v_fmac_f16_e32 v111, 0xb482, v85
	v_mul_f16_e32 v126, 0xb08e, v113
	v_mul_f16_e32 v128, 0xbbad, v113
	v_add_f16_e32 v149, v160, v149
	v_add_f16_e32 v160, v31, v161
	v_fmamk_f16 v161, v92, 0xb853, v112
	v_mul_f16_e32 v113, 0xb93d, v113
	v_fmamk_f16 v162, v23, 0x36a6, v156
	v_fmamk_f16 v163, v24, 0xbbad, v106
	v_mul_f16_e32 v107, 0x3853, v107
	v_add_f16_e32 v111, v31, v111
	v_fmac_f16_e32 v112, 0x3853, v92
	v_fma_f16 v106, v24, 0xbbad, -v106
	v_mul_f16_e32 v132, 0xb93d, v114
	v_mul_f16_e32 v134, 0xb08e, v114
	v_add_f16_e32 v160, v161, v160
	v_fmamk_f16 v161, v94, 0x3a0c, v113
	v_mul_f16_e32 v114, 0x36a6, v114
	v_add_f16_e32 v155, v162, v155
	v_add_f16_e32 v162, v19, v163
	v_fmamk_f16 v163, v26, 0x3abb, v107
	v_mul_f16_e32 v109, 0xba0c, v109
	v_add_f16_e32 v111, v112, v111
	v_fmac_f16_e32 v113, 0xba0c, v94
	v_add_f16_e32 v106, v19, v106
	v_fma_f16 v107, v26, 0x3abb, -v107
	v_add_f16_e32 v160, v161, v160
	v_fmamk_f16 v161, v95, 0xbb47, v114
	v_mul_f16_e32 v110, 0x3b47, v110
	v_add_f16_e32 v111, v113, v111
	v_fmac_f16_e32 v114, 0x3b47, v95
	v_fmac_f16_e32 v147, 0xba0c, v85
	v_add_f16_e32 v106, v107, v106
	v_fma_f16 v107, v28, 0xb93d, -v109
	v_add_f16_e32 v160, v161, v160
	v_add_f16_e32 v161, v163, v162
	v_fmamk_f16 v162, v28, 0xb93d, v109
	v_add_f16_e32 v109, v114, v111
	v_add_f16_e32 v111, v31, v147
	v_fmac_f16_e32 v151, 0x3beb, v92
	v_add_f16_e32 v106, v107, v106
	v_fma_f16 v107, v81, 0x36a6, -v110
	v_fmac_f16_e32 v152, 0xb853, v94
	v_fmac_f16_e32 v125, 0xbbeb, v85
	v_add_f16_e32 v111, v151, v111
	v_fmac_f16_e32 v131, 0x3482, v92
	v_add_f16_e32 v106, v107, v106
	v_fma_f16 v107, v24, 0xb93d, -v153
	v_mul_f16_e32 v116, 0x3abb, v24
	v_add_f16_e32 v85, v152, v111
	v_fma_f16 v111, v26, 0xb08e, -v157
	v_mul_f16_e32 v118, 0x36a6, v24
	v_add_f16_e32 v107, v19, v107
	v_fmac_f16_e32 v136, 0x3b47, v94
	v_fma_f16 v24, v24, 0xb08e, -v139
	v_fma_f16 v94, v81, 0xbbad, -v159
	v_mul_f16_e32 v120, 0x36a6, v26
	v_add_f16_e32 v92, v111, v107
	v_fma_f16 v107, v28, 0x3abb, -v158
	v_mul_f16_e32 v122, 0xb93d, v26
	v_add_f16_e32 v24, v19, v24
	;; [unrolled: 3-line block ×3, first 2 shown]
	v_mul_f16_e32 v127, 0xbbad, v28
	v_mul_f16_e32 v129, 0xb93d, v81
	v_add_f16_e32 v24, v26, v24
	v_fma_f16 v26, v28, 0x36a6, -v146
	v_add_f16_e32 v92, v94, v92
	v_add_f16_e32 v94, v105, v119
	v_mul_f16_e32 v133, 0xb08e, v81
	v_add_f16_e32 v161, v162, v161
	v_fmamk_f16 v162, v81, 0x36a6, v110
	v_add_f16_e32 v24, v26, v24
	v_add_f16_e32 v28, v31, v94
	;; [unrolled: 1-line block ×3, first 2 shown]
	v_fma_f16 v26, v81, 0x3abb, -v148
	v_add_f16_e32 v81, v103, v128
	v_sub_f16_e32 v100, v118, v100
	v_add_f16_e32 v79, v19, v79
	v_add_f16_e32 v28, v94, v28
	;; [unrolled: 1-line block ×5, first 2 shown]
	v_sub_f16_e32 v99, v122, v99
	v_add_f16_e32 v26, v81, v28
	v_add_f16_e32 v28, v101, v134
	;; [unrolled: 1-line block ×3, first 2 shown]
	v_mul_f16_e32 v108, 0xbbeb, v108
	v_add_f16_e32 v81, v99, v94
	v_sub_f16_e32 v94, v127, v98
	v_add_f16_e32 v26, v28, v26
	v_add_f16_e32 v28, v79, v78
	;; [unrolled: 1-line block ×4, first 2 shown]
	v_fmamk_f16 v113, v23, 0xb08e, v108
	v_add_f16_e32 v78, v94, v81
	v_add_f16_e32 v28, v28, v77
	v_sub_f16_e32 v75, v133, v96
	v_add_f16_e32 v77, v93, v117
	v_add_f16_e32 v68, v73, v68
	;; [unrolled: 1-line block ×6, first 2 shown]
	v_sub_f16_e32 v75, v116, v90
	v_add_f16_e32 v31, v31, v77
	v_add_f16_e32 v73, v91, v121
	;; [unrolled: 1-line block ×5, first 2 shown]
	v_sub_f16_e32 v28, v120, v88
	v_add_f16_e32 v31, v73, v31
	v_add_f16_e32 v68, v89, v126
	;; [unrolled: 1-line block ×5, first 2 shown]
	v_sub_f16_e32 v28, v124, v86
	v_add_f16_e32 v31, v68, v31
	v_add_f16_e32 v22, v25, v22
	;; [unrolled: 1-line block ×4, first 2 shown]
	v_mul_f16_e32 v137, 0xbbad, v23
	v_mul_f16_e32 v138, 0xbbad, v115
	v_add_f16_e32 v111, v131, v112
	v_add_f16_e32 v19, v28, v19
	v_sub_f16_e32 v28, v129, v83
	v_add_f16_e32 v20, v22, v20
	v_add_f16_e32 v22, v25, v31
	;; [unrolled: 1-line block ×3, first 2 shown]
	v_mul_f16_e32 v141, 0x3abb, v23
	v_mul_f16_e32 v144, 0x3abb, v115
	v_add_f16_e32 v107, v136, v111
	v_fmac_f16_e32 v140, 0xb853, v95
	v_add_f16_e32 v27, v84, v138
	v_add_f16_e32 v19, v28, v19
	;; [unrolled: 1-line block ×3, first 2 shown]
	v_mul_u32_u24_e32 v21, 0xb0, v51
	v_add_f16_e32 v25, v25, v33
	v_sub_f16_e32 v28, v137, v82
	v_mul_f16_e32 v115, 0xb08e, v115
	v_fmac_f16_e32 v154, 0xb482, v95
	v_fma_f16 v108, v23, 0xb08e, -v108
	v_fma_f16 v95, v23, 0x36a6, -v156
	v_add_f16_e32 v105, v140, v107
	v_fmac_f16_e32 v135, 0xba0c, v102
	v_fma_f16 v23, v23, 0xb93d, -v145
	v_add_f16_e32 v79, v97, v144
	v_add_f16_e32 v22, v27, v22
	;; [unrolled: 1-line block ×3, first 2 shown]
	v_or_b32_e32 v20, v21, v50
	v_add_f16_e32 v21, v25, v32
	v_add_f16_e32 v19, v28, v19
	v_sub_f16_e32 v25, v141, v80
	v_fmamk_f16 v163, v102, 0x3beb, v115
	v_fmac_f16_e32 v115, 0xbbeb, v102
	v_add_f16_e32 v85, v154, v85
	v_fmac_f16_e32 v150, 0x3b47, v102
	v_add_f16_e32 v100, v135, v105
	v_add_f16_e32 v26, v79, v26
	v_lshlrev_b32_e32 v20, 2, v20
	v_pack_b32_f16 v8, v8, v21
	v_pack_b32_f16 v19, v19, v22
	v_add_f16_e32 v21, v25, v74
	v_add_f16_e32 v22, v23, v24
	;; [unrolled: 1-line block ×7, first 2 shown]
	ds_write2_b32 v20, v8, v19 offset1:16
	v_pack_b32_f16 v8, v21, v26
	v_pack_b32_f16 v19, v22, v100
	;; [unrolled: 1-line block ×7, first 2 shown]
	v_perm_b32 v26, v70, v69, 0x5040100
	v_perm_b32 v27, v72, v71, 0x5040100
	ds_write2_b32 v20, v8, v19 offset0:32 offset1:48
	ds_write2_b32 v20, v21, v22 offset0:64 offset1:80
	;; [unrolled: 1-line block ×4, first 2 shown]
	ds_write_b32 v20, v27 offset:640
.LBB0_19:
	s_or_b32 exec_lo, exec_lo, s4
	v_mov_b32_e32 v8, 0xba2f
	v_lshlrev_b32_e32 v30, 2, v30
	s_waitcnt lgkmcnt(0)
	s_barrier
	buffer_gl0_inv
	v_mul_u32_u24_sdwa v8, v29, v8 dst_sel:DWORD dst_unused:UNUSED_PAD src0_sel:WORD_0 src1_sel:DWORD
	global_load_dwordx2 v[19:20], v30, s[2:3] offset:688
	v_add_nc_u32_e32 v34, 0x500, v40
	v_add_nc_u32_e32 v35, 0x1000, v40
	;; [unrolled: 1-line block ×3, first 2 shown]
	v_lshrrev_b32_e32 v8, 23, v8
	ds_read2_b32 v[23:24], v40 offset1:176
	ds_read_b32 v36, v40 offset:5632
	v_lshlrev_b32_e32 v31, 2, v9
	v_mov_b32_e32 v68, 2
	v_mul_lo_u16 v8, 0xb0, v8
	v_sub_nc_u16 v33, v29, v8
	v_lshlrev_b32_e32 v29, 3, v29
	v_lshlrev_b16 v8, 3, v33
	v_lshlrev_b32_sdwa v68, v68, v33 dst_sel:DWORD dst_unused:UNUSED_PAD src0_sel:DWORD src1_sel:WORD_0
	v_and_b32_e32 v8, 0xffff, v8
	s_waitcnt lgkmcnt(1)
	v_lshrrev_b32_e32 v76, 16, v24
	s_waitcnt lgkmcnt(0)
	v_lshrrev_b32_e32 v77, 16, v36
	v_add_nc_u32_e32 v83, 0x1000, v68
	v_add_co_u32 v21, s4, s2, v8
	v_add_co_ci_u32_e64 v22, null, s3, 0, s4
	v_add_co_u32 v30, s4, s2, v30
	v_add_co_ci_u32_e64 v32, null, s3, 0, s4
	global_load_dwordx2 v[21:22], v[21:22], off offset:688
	ds_read2_b32 v[8:9], v34 offset0:32 offset1:208
	ds_read2_b32 v[25:26], v35 offset0:32 offset1:208
	;; [unrolled: 1-line block ×3, first 2 shown]
	v_add_co_u32 v31, s4, s2, v31
	v_add_co_u32 v74, s2, s2, v29
	v_add_co_ci_u32_e64 v73, null, s3, 0, s4
	v_add_co_ci_u32_e64 v75, null, s3, 0, s2
	v_add_co_u32 v29, s2, 0x800, v30
	v_add_co_ci_u32_e64 v30, s2, 0, v32, s2
	v_add_co_u32 v31, s2, 0x800, v31
	v_add_co_ci_u32_e64 v32, s2, 0, v73, s2
	v_lshrrev_b32_e32 v73, 16, v23
	s_waitcnt lgkmcnt(2)
	v_lshrrev_b32_e32 v78, 16, v9
	s_waitcnt lgkmcnt(1)
	;; [unrolled: 2-line block ×3, first 2 shown]
	v_lshrrev_b32_e32 v33, 16, v27
	v_lshrrev_b32_e32 v80, 16, v26
	;; [unrolled: 1-line block ×4, first 2 shown]
	s_waitcnt vmcnt(0)
	s_barrier
	buffer_gl0_inv
	v_mul_f16_sdwa v84, v78, v19 dst_sel:DWORD dst_unused:UNUSED_PAD src0_sel:DWORD src1_sel:WORD_1
	v_mul_f16_sdwa v85, v9, v19 dst_sel:DWORD dst_unused:UNUSED_PAD src0_sel:DWORD src1_sel:WORD_1
	;; [unrolled: 1-line block ×8, first 2 shown]
	v_fma_f16 v9, v9, v19, -v84
	v_fmac_f16_e32 v85, v78, v19
	v_fmac_f16_e32 v89, v33, v19
	;; [unrolled: 1-line block ×3, first 2 shown]
	v_fma_f16 v25, v25, v20, -v86
	v_fmac_f16_e32 v87, v79, v20
	v_fma_f16 v27, v27, v19, -v88
	v_fma_f16 v26, v26, v20, -v90
	v_add_f16_e32 v33, v23, v9
	v_add_f16_e32 v80, v73, v85
	v_sub_f16_e32 v88, v89, v91
	v_add_f16_e32 v90, v76, v89
	v_add_f16_e32 v89, v89, v91
	v_add_f16_e32 v78, v9, v25
	v_sub_f16_e32 v79, v85, v87
	v_add_f16_e32 v84, v85, v87
	v_sub_f16_e32 v9, v9, v25
	v_add_f16_e32 v85, v24, v27
	v_add_f16_e32 v86, v27, v26
	v_sub_f16_e32 v27, v27, v26
	v_add_f16_e32 v25, v33, v25
	v_add_f16_e32 v33, v80, v87
	v_fmac_f16_e32 v76, -0.5, v89
	v_fmac_f16_e32 v73, -0.5, v84
	v_add_f16_e32 v26, v85, v26
	v_fmac_f16_e32 v24, -0.5, v86
	v_pack_b32_f16 v25, v25, v33
	v_fmamk_f16 v84, v27, 0xbaee, v76
	v_fmac_f16_e32 v76, 0x3aee, v27
	v_mul_f16_sdwa v27, v82, v21 dst_sel:DWORD dst_unused:UNUSED_PAD src0_sel:DWORD src1_sel:WORD_1
	v_mul_f16_sdwa v33, v77, v22 dst_sel:DWORD dst_unused:UNUSED_PAD src0_sel:DWORD src1_sel:WORD_1
	v_mul_f16_sdwa v85, v28, v21 dst_sel:DWORD dst_unused:UNUSED_PAD src0_sel:DWORD src1_sel:WORD_1
	v_mul_f16_sdwa v86, v36, v22 dst_sel:DWORD dst_unused:UNUSED_PAD src0_sel:DWORD src1_sel:WORD_1
	v_fma_f16 v23, -0.5, v78, v23
	v_fma_f16 v27, v28, v21, -v27
	v_fma_f16 v28, v36, v22, -v33
	v_fmac_f16_e32 v85, v82, v21
	v_fmac_f16_e32 v86, v77, v22
	v_add_f16_e32 v78, v90, v91
	v_fmamk_f16 v80, v79, 0x3aee, v23
	v_fmac_f16_e32 v23, 0xbaee, v79
	v_fmamk_f16 v79, v9, 0xbaee, v73
	v_fmac_f16_e32 v73, 0x3aee, v9
	v_add_f16_e32 v36, v27, v28
	v_add_f16_e32 v77, v85, v86
	v_pack_b32_f16 v26, v26, v78
	v_pack_b32_f16 v33, v80, v79
	;; [unrolled: 1-line block ×3, first 2 shown]
	v_add_f16_e32 v73, v8, v27
	v_sub_f16_e32 v78, v85, v86
	v_add_f16_e32 v79, v81, v85
	v_fmac_f16_e32 v8, -0.5, v36
	v_sub_f16_e32 v27, v27, v28
	v_fmac_f16_e32 v81, -0.5, v77
	v_fmamk_f16 v9, v88, 0x3aee, v24
	v_fmac_f16_e32 v24, 0xbaee, v88
	v_add_f16_e32 v28, v73, v28
	v_add_f16_e32 v36, v79, v86
	v_fmamk_f16 v73, v78, 0x3aee, v8
	v_fmamk_f16 v77, v27, 0xbaee, v81
	v_fmac_f16_e32 v8, 0xbaee, v78
	v_fmac_f16_e32 v81, 0x3aee, v27
	v_pack_b32_f16 v9, v9, v84
	v_pack_b32_f16 v24, v24, v76
	;; [unrolled: 1-line block ×5, first 2 shown]
	ds_write2_b32 v40, v25, v33 offset1:176
	ds_write2_b32 v34, v23, v26 offset0:32 offset1:208
	ds_write2_b32 v37, v9, v24 offset0:64 offset1:240
	;; [unrolled: 1-line block ×3, first 2 shown]
	ds_write_b32 v68, v8 offset:5632
	v_add_co_u32 v8, s2, 0x800, v74
	s_waitcnt lgkmcnt(0)
	s_barrier
	buffer_gl0_inv
	global_load_dwordx2 v[27:28], v[29:30], off offset:48
	v_add_co_ci_u32_e64 v9, s2, 0, v75, s2
	s_clause 0x1
	global_load_dwordx2 v[25:26], v[31:32], off offset:48
	global_load_dwordx2 v[23:24], v[8:9], off offset:48
	ds_read2_b32 v[31:32], v40 offset1:176
	ds_read2_b32 v[29:30], v34 offset0:32 offset1:208
	ds_read2_b32 v[33:34], v35 offset0:32 offset1:208
	;; [unrolled: 1-line block ×3, first 2 shown]
	ds_read_b32 v74, v40 offset:5632
	v_add_co_u32 v8, s2, 0x1800, v14
	v_add_co_ci_u32_e64 v9, s2, 0, v15, s2
	s_waitcnt lgkmcnt(4)
	v_lshrrev_b32_e32 v75, 16, v31
	s_waitcnt lgkmcnt(3)
	v_lshrrev_b32_e32 v76, 16, v30
	;; [unrolled: 2-line block ×4, first 2 shown]
	v_lshrrev_b32_e32 v80, 16, v34
	v_lshrrev_b32_e32 v81, 16, v36
	s_waitcnt lgkmcnt(0)
	v_lshrrev_b32_e32 v82, 16, v74
	v_lshrrev_b32_e32 v78, 16, v32
	;; [unrolled: 1-line block ×3, first 2 shown]
	s_waitcnt vmcnt(2)
	v_mul_f16_sdwa v83, v76, v27 dst_sel:DWORD dst_unused:UNUSED_PAD src0_sel:DWORD src1_sel:WORD_1
	v_mul_f16_sdwa v84, v30, v27 dst_sel:DWORD dst_unused:UNUSED_PAD src0_sel:DWORD src1_sel:WORD_1
	v_mul_f16_sdwa v85, v77, v28 dst_sel:DWORD dst_unused:UNUSED_PAD src0_sel:DWORD src1_sel:WORD_1
	v_mul_f16_sdwa v86, v33, v28 dst_sel:DWORD dst_unused:UNUSED_PAD src0_sel:DWORD src1_sel:WORD_1
	s_waitcnt vmcnt(1)
	v_mul_f16_sdwa v87, v79, v25 dst_sel:DWORD dst_unused:UNUSED_PAD src0_sel:DWORD src1_sel:WORD_1
	v_mul_f16_sdwa v88, v35, v25 dst_sel:DWORD dst_unused:UNUSED_PAD src0_sel:DWORD src1_sel:WORD_1
	v_mul_f16_sdwa v89, v80, v26 dst_sel:DWORD dst_unused:UNUSED_PAD src0_sel:DWORD src1_sel:WORD_1
	v_mul_f16_sdwa v90, v34, v26 dst_sel:DWORD dst_unused:UNUSED_PAD src0_sel:DWORD src1_sel:WORD_1
	;; [unrolled: 5-line block ×3, first 2 shown]
	v_fma_f16 v30, v30, v27, -v83
	v_fmac_f16_e32 v84, v76, v27
	v_fma_f16 v33, v33, v28, -v85
	v_fmac_f16_e32 v86, v77, v28
	;; [unrolled: 2-line block ×6, first 2 shown]
	v_add_f16_e32 v77, v30, v33
	v_add_f16_e32 v81, v84, v86
	;; [unrolled: 1-line block ×5, first 2 shown]
	v_sub_f16_e32 v79, v84, v86
	v_add_f16_e32 v80, v75, v84
	v_sub_f16_e32 v30, v30, v33
	v_sub_f16_e32 v84, v88, v90
	v_add_f16_e32 v85, v78, v88
	v_add_f16_e32 v88, v29, v36
	;; [unrolled: 1-line block ×3, first 2 shown]
	v_sub_f16_e32 v91, v92, v94
	v_add_f16_e32 v93, v73, v92
	v_add_f16_e32 v92, v92, v94
	v_fma_f16 v31, -0.5, v77, v31
	v_fmac_f16_e32 v75, -0.5, v81
	v_add_f16_e32 v82, v32, v35
	v_sub_f16_e32 v35, v35, v34
	v_fmac_f16_e32 v32, -0.5, v83
	v_fmac_f16_e32 v78, -0.5, v87
	v_sub_f16_e32 v36, v36, v74
	v_add_f16_e32 v33, v76, v33
	v_add_f16_e32 v76, v80, v86
	;; [unrolled: 1-line block ×3, first 2 shown]
	v_fmac_f16_e32 v29, -0.5, v89
	v_add_f16_e32 v80, v93, v94
	v_fmac_f16_e32 v73, -0.5, v92
	v_fmamk_f16 v81, v79, 0x3aee, v31
	v_fmac_f16_e32 v31, 0xbaee, v79
	v_fmamk_f16 v79, v30, 0xbaee, v75
	v_fmac_f16_e32 v75, 0x3aee, v30
	v_add_f16_e32 v34, v82, v34
	v_add_f16_e32 v77, v85, v90
	v_fmamk_f16 v30, v84, 0x3aee, v32
	v_fmac_f16_e32 v32, 0xbaee, v84
	v_fmamk_f16 v82, v35, 0xbaee, v78
	v_fmac_f16_e32 v78, 0x3aee, v35
	;; [unrolled: 2-line block ×4, first 2 shown]
	v_pack_b32_f16 v36, v74, v80
	v_pack_b32_f16 v74, v81, v79
	;; [unrolled: 1-line block ×9, first 2 shown]
	ds_write_b32 v40, v74 offset:2112
	ds_write_b32 v40, v31 offset:4224
	ds_write2_b32 v40, v33, v34 offset1:176
	ds_write_b32 v40, v32 offset:4928
	ds_write_b32 v40, v36 offset:1408
	ds_write2_b32 v37, v30, v35 offset0:64 offset1:240
	ds_write_b32 v40, v75 offset:5632
	s_waitcnt lgkmcnt(0)
	s_barrier
	buffer_gl0_inv
	global_load_dword v36, v[8:9], off offset:192
	v_add_co_u32 v32, s2, 0x2000, v14
	v_add_co_ci_u32_e64 v33, s2, 0, v15, s2
	v_add_co_u32 v34, s2, 0x2800, v14
	v_add_co_ci_u32_e64 v35, s2, 0, v15, s2
	;; [unrolled: 2-line block ×3, first 2 shown]
	s_clause 0x6
	global_load_dword v37, v[34:35], off offset:1552
	global_load_dword v80, v[32:33], off offset:2016
	;; [unrolled: 1-line block ×7, first 2 shown]
	ds_read2_b32 v[32:33], v40 offset1:176
	s_waitcnt lgkmcnt(0)
	v_lshrrev_b32_e32 v34, 16, v32
	v_lshrrev_b32_e32 v85, 16, v33
	s_waitcnt vmcnt(7)
	v_mul_f16_sdwa v74, v34, v36 dst_sel:DWORD dst_unused:UNUSED_PAD src0_sel:DWORD src1_sel:WORD_1
	v_mul_f16_sdwa v75, v32, v36 dst_sel:DWORD dst_unused:UNUSED_PAD src0_sel:DWORD src1_sel:WORD_1
	v_fma_f16 v32, v32, v36, -v74
	v_fmac_f16_e32 v75, v34, v36
	v_add_nc_u32_e32 v36, 0x1200, v40
	v_add_nc_u32_e32 v34, 0xc00, v40
	s_waitcnt vmcnt(3)
	v_mul_f16_sdwa v86, v85, v82 dst_sel:DWORD dst_unused:UNUSED_PAD src0_sel:DWORD src1_sel:WORD_1
	v_pack_b32_f16 v74, v32, v75
	v_add_nc_u32_e32 v32, 0x600, v40
	v_mul_f16_sdwa v87, v33, v82 dst_sel:DWORD dst_unused:UNUSED_PAD src0_sel:DWORD src1_sel:WORD_1
	v_fma_f16 v33, v33, v82, -v86
	ds_write_b32 v40, v74
	ds_read2_b32 v[74:75], v32 offset0:12 offset1:188
	ds_read2_b32 v[76:77], v34 offset0:24 offset1:200
	;; [unrolled: 1-line block ×3, first 2 shown]
	v_fmac_f16_e32 v87, v85, v82
	v_add_nc_u32_e32 v82, 0x280, v40
	v_add_nc_u32_e32 v85, 0x880, v40
	;; [unrolled: 1-line block ×3, first 2 shown]
	v_pack_b32_f16 v33, v33, v87
	s_waitcnt lgkmcnt(2)
	v_lshrrev_b32_e32 v87, 16, v74
	s_waitcnt vmcnt(2)
	v_mul_f16_sdwa v88, v74, v83 dst_sel:DWORD dst_unused:UNUSED_PAD src0_sel:DWORD src1_sel:WORD_1
	s_waitcnt lgkmcnt(1)
	v_lshrrev_b32_e32 v89, 16, v76
	s_waitcnt vmcnt(1)
	v_mul_f16_sdwa v90, v76, v84 dst_sel:DWORD dst_unused:UNUSED_PAD src0_sel:DWORD src1_sel:WORD_1
	;; [unrolled: 4-line block ×3, first 2 shown]
	v_lshrrev_b32_e32 v93, 16, v75
	v_mul_f16_sdwa v94, v75, v81 dst_sel:DWORD dst_unused:UNUSED_PAD src0_sel:DWORD src1_sel:WORD_1
	v_lshrrev_b32_e32 v95, 16, v77
	v_mul_f16_sdwa v96, v77, v80 dst_sel:DWORD dst_unused:UNUSED_PAD src0_sel:DWORD src1_sel:WORD_1
	;; [unrolled: 2-line block ×3, first 2 shown]
	v_fmac_f16_e32 v88, v87, v83
	v_mul_f16_sdwa v87, v89, v84 dst_sel:DWORD dst_unused:UNUSED_PAD src0_sel:DWORD src1_sel:WORD_1
	v_fmac_f16_e32 v90, v89, v84
	v_mul_f16_sdwa v89, v91, v35 dst_sel:DWORD dst_unused:UNUSED_PAD src0_sel:DWORD src1_sel:WORD_1
	;; [unrolled: 2-line block ×4, first 2 shown]
	v_mul_f16_sdwa v98, v79, v37 dst_sel:DWORD dst_unused:UNUSED_PAD src0_sel:DWORD src1_sel:WORD_1
	v_fmac_f16_e32 v96, v95, v80
	v_mul_f16_sdwa v95, v97, v37 dst_sel:DWORD dst_unused:UNUSED_PAD src0_sel:DWORD src1_sel:WORD_1
	v_fma_f16 v74, v74, v83, -v99
	v_fma_f16 v76, v76, v84, -v87
	;; [unrolled: 1-line block ×5, first 2 shown]
	v_fmac_f16_e32 v98, v97, v37
	v_fma_f16 v37, v79, v37, -v95
	v_pack_b32_f16 v74, v74, v88
	v_pack_b32_f16 v76, v76, v90
	;; [unrolled: 1-line block ×6, first 2 shown]
	ds_write2_b32 v82, v33, v74 offset0:16 offset1:236
	ds_write2_b32 v85, v75, v76 offset0:28 offset1:248
	;; [unrolled: 1-line block ×3, first 2 shown]
	ds_write_b32 v40, v37 offset:5456
	s_and_saveexec_b32 s3, vcc_lo
	s_cbranch_execz .LBB0_21
; %bb.20:
	v_add_co_u32 v74, s2, 0x800, v30
	v_add_co_ci_u32_e64 v75, s2, 0, v31, s2
	v_add_co_u32 v76, s2, 0x1000, v30
	global_load_dword v33, v[30:31], off offset:1408
	v_add_co_ci_u32_e64 v77, s2, 0, v31, s2
	v_add_co_u32 v30, s2, 0x1800, v30
	v_add_co_ci_u32_e64 v31, s2, 0, v31, s2
	s_clause 0x2
	global_load_dword v35, v[74:75], off offset:944
	global_load_dword v37, v[76:77], off offset:480
	;; [unrolled: 1-line block ×3, first 2 shown]
	ds_read_b32 v31, v40 offset:1408
	ds_read_b32 v74, v40 offset:2992
	;; [unrolled: 1-line block ×4, first 2 shown]
	s_waitcnt lgkmcnt(3)
	v_lshrrev_b32_e32 v77, 16, v31
	s_waitcnt lgkmcnt(2)
	v_lshrrev_b32_e32 v80, 16, v74
	;; [unrolled: 2-line block ×4, first 2 shown]
	s_waitcnt vmcnt(3)
	v_mul_f16_sdwa v78, v77, v33 dst_sel:DWORD dst_unused:UNUSED_PAD src0_sel:DWORD src1_sel:WORD_1
	v_mul_f16_sdwa v79, v31, v33 dst_sel:DWORD dst_unused:UNUSED_PAD src0_sel:DWORD src1_sel:WORD_1
	v_fma_f16 v31, v31, v33, -v78
	v_fmac_f16_e32 v79, v77, v33
	s_waitcnt vmcnt(2)
	v_mul_f16_sdwa v33, v80, v35 dst_sel:DWORD dst_unused:UNUSED_PAD src0_sel:DWORD src1_sel:WORD_1
	v_mul_f16_sdwa v77, v74, v35 dst_sel:DWORD dst_unused:UNUSED_PAD src0_sel:DWORD src1_sel:WORD_1
	s_waitcnt vmcnt(1)
	v_mul_f16_sdwa v78, v81, v37 dst_sel:DWORD dst_unused:UNUSED_PAD src0_sel:DWORD src1_sel:WORD_1
	v_mul_f16_sdwa v83, v75, v37 dst_sel:DWORD dst_unused:UNUSED_PAD src0_sel:DWORD src1_sel:WORD_1
	;; [unrolled: 3-line block ×3, first 2 shown]
	v_fma_f16 v33, v74, v35, -v33
	v_fmac_f16_e32 v77, v80, v35
	v_fma_f16 v35, v75, v37, -v78
	v_fmac_f16_e32 v83, v81, v37
	;; [unrolled: 2-line block ×3, first 2 shown]
	v_pack_b32_f16 v30, v31, v79
	v_pack_b32_f16 v31, v33, v77
	;; [unrolled: 1-line block ×4, first 2 shown]
	ds_write_b32 v40, v30 offset:1408
	ds_write_b32 v40, v31 offset:2992
	ds_write_b32 v40, v33 offset:4576
	ds_write_b32 v40, v35 offset:6160
.LBB0_21:
	s_or_b32 exec_lo, exec_lo, s3
	s_waitcnt lgkmcnt(0)
	s_barrier
	buffer_gl0_inv
	ds_read2_b32 v[30:31], v40 offset1:176
	ds_read2_b32 v[32:33], v32 offset0:12 offset1:188
	ds_read2_b32 v[34:35], v34 offset0:24 offset1:200
	;; [unrolled: 1-line block ×3, first 2 shown]
	s_and_saveexec_b32 s2, vcc_lo
	s_cbranch_execz .LBB0_23
; %bb.22:
	ds_read_b32 v29, v40 offset:1408
	ds_read_b32 v69, v40 offset:2992
	;; [unrolled: 1-line block ×4, first 2 shown]
	s_waitcnt lgkmcnt(3)
	v_lshrrev_b32_e32 v73, 16, v29
	s_waitcnt lgkmcnt(2)
	v_lshrrev_b32_e32 v70, 16, v69
	;; [unrolled: 2-line block ×4, first 2 shown]
.LBB0_23:
	s_or_b32 exec_lo, exec_lo, s2
	s_waitcnt lgkmcnt(1)
	v_pk_add_f16 v34, v30, v34 neg_lo:[0,1] neg_hi:[0,1]
	s_waitcnt lgkmcnt(0)
	v_pk_add_f16 v36, v32, v36 neg_lo:[0,1] neg_hi:[0,1]
	v_sub_f16_e32 v71, v29, v71
	v_sub_f16_e32 v76, v69, v61
	v_pk_add_f16 v35, v31, v35 neg_lo:[0,1] neg_hi:[0,1]
	v_pk_add_f16 v74, v33, v37 neg_lo:[0,1] neg_hi:[0,1]
	v_lshrrev_b32_e32 v37, 16, v34
	v_add_f16_sdwa v75, v34, v36 dst_sel:DWORD dst_unused:UNUSED_PAD src0_sel:DWORD src1_sel:WORD_1
	v_sub_f16_e32 v72, v73, v72
	v_fma_f16 v29, v29, 2.0, -v71
	v_sub_f16_e32 v80, v70, v62
	v_fma_f16 v61, v69, 2.0, -v76
	v_lshrrev_b32_e32 v77, 16, v35
	v_add_f16_sdwa v81, v35, v74 dst_sel:DWORD dst_unused:UNUSED_PAD src0_sel:DWORD src1_sel:WORD_1
	v_sub_f16_e32 v78, v37, v36
	v_fma_f16 v79, v34, 2.0, -v75
	v_fma_f16 v69, v73, 2.0, -v72
	v_fma_f16 v62, v70, 2.0, -v80
	v_sub_f16_e32 v61, v29, v61
	v_pk_fma_f16 v34, v30, 2.0, v34 op_sel_hi:[1,0,1] neg_lo:[0,0,1] neg_hi:[0,0,1]
	v_pk_fma_f16 v32, v32, 2.0, v36 op_sel_hi:[1,0,1] neg_lo:[0,0,1] neg_hi:[0,0,1]
	v_sub_f16_e32 v82, v77, v74
	v_fma_f16 v83, v35, 2.0, -v81
	v_pk_fma_f16 v35, v31, 2.0, v35 op_sel_hi:[1,0,1] neg_lo:[0,0,1] neg_hi:[0,0,1]
	v_pk_fma_f16 v31, v33, 2.0, v74 op_sel_hi:[1,0,1] neg_lo:[0,0,1] neg_hi:[0,0,1]
	v_fma_f16 v73, v37, 2.0, -v78
	v_sub_f16_e32 v62, v69, v62
	v_fma_f16 v37, v29, 2.0, -v61
	v_add_f16_e32 v29, v80, v71
	v_sub_f16_e32 v30, v72, v76
	v_pk_add_f16 v33, v34, v32 neg_lo:[0,1] neg_hi:[0,1]
	v_fma_f16 v77, v77, 2.0, -v82
	v_pk_add_f16 v74, v35, v31 neg_lo:[0,1] neg_hi:[0,1]
	v_fma_f16 v69, v69, 2.0, -v62
	v_fma_f16 v70, v71, 2.0, -v29
	;; [unrolled: 1-line block ×3, first 2 shown]
	v_pk_fma_f16 v31, v34, 2.0, v33 op_sel_hi:[1,0,1] neg_lo:[0,0,1] neg_hi:[0,0,1]
	v_pack_b32_f16 v34, v75, v78
	v_pack_b32_f16 v32, v79, v73
	v_pk_fma_f16 v72, v35, 2.0, v74 op_sel_hi:[1,0,1] neg_lo:[0,0,1] neg_hi:[0,0,1]
	v_pack_b32_f16 v75, v81, v82
	v_pack_b32_f16 v73, v83, v77
	s_barrier
	buffer_gl0_inv
	ds_write_b128 v55, v[31:34]
	ds_write_b128 v56, v[72:75]
	s_and_saveexec_b32 s2, vcc_lo
	s_cbranch_execz .LBB0_25
; %bb.24:
	v_perm_b32 v32, v30, v29, 0x5040100
	v_perm_b32 v31, v62, v61, 0x5040100
	;; [unrolled: 1-line block ×4, first 2 shown]
	ds_write_b128 v54, v[29:32]
.LBB0_25:
	s_or_b32 exec_lo, exec_lo, s2
	v_add_nc_u32_e32 v29, 0xc00, v40
	v_add_nc_u32_e32 v30, 0x500, v40
	;; [unrolled: 1-line block ×3, first 2 shown]
	s_waitcnt lgkmcnt(0)
	s_barrier
	buffer_gl0_inv
	ds_read2_b32 v[31:32], v40 offset1:176
	ds_read2_b32 v[35:36], v29 offset0:24 offset1:200
	ds_read2_b32 v[29:30], v30 offset0:32 offset1:208
	ds_read2_b32 v[33:34], v33 offset0:56 offset1:232
	s_and_saveexec_b32 s2, s0
	s_cbranch_execz .LBB0_27
; %bb.26:
	ds_read_b32 v37, v40 offset:2816
	ds_read_b32 v70, v40 offset:5984
	s_waitcnt lgkmcnt(1)
	v_lshrrev_b32_e32 v69, 16, v37
	s_waitcnt lgkmcnt(0)
	v_lshrrev_b32_e32 v71, 16, v70
.LBB0_27:
	s_or_b32 exec_lo, exec_lo, s2
	s_waitcnt lgkmcnt(2)
	v_lshrrev_b32_e32 v55, 16, v35
	v_lshrrev_b32_e32 v72, 16, v36
	s_waitcnt lgkmcnt(0)
	v_lshrrev_b32_e32 v74, 16, v33
	v_mul_f16_sdwa v80, v39, v36 dst_sel:DWORD dst_unused:UNUSED_PAD src0_sel:WORD_1 src1_sel:DWORD
	v_lshrrev_b32_e32 v77, 16, v34
	v_mul_f16_sdwa v76, v39, v55 dst_sel:DWORD dst_unused:UNUSED_PAD src0_sel:WORD_1 src1_sel:DWORD
	v_mul_f16_sdwa v79, v39, v72 dst_sel:DWORD dst_unused:UNUSED_PAD src0_sel:WORD_1 src1_sel:DWORD
	v_mul_f16_sdwa v78, v39, v35 dst_sel:DWORD dst_unused:UNUSED_PAD src0_sel:WORD_1 src1_sel:DWORD
	v_lshrrev_b32_e32 v54, 16, v31
	v_lshrrev_b32_e32 v56, 16, v32
	v_fmac_f16_e32 v76, v39, v35
	v_mul_f16_sdwa v35, v39, v74 dst_sel:DWORD dst_unused:UNUSED_PAD src0_sel:WORD_1 src1_sel:DWORD
	v_fmac_f16_e32 v79, v39, v36
	v_fma_f16 v36, v39, v72, -v80
	v_mul_f16_sdwa v72, v39, v33 dst_sel:DWORD dst_unused:UNUSED_PAD src0_sel:WORD_1 src1_sel:DWORD
	v_fma_f16 v55, v39, v55, -v78
	v_fmac_f16_e32 v35, v39, v33
	v_mul_f16_sdwa v33, v39, v77 dst_sel:DWORD dst_unused:UNUSED_PAD src0_sel:WORD_1 src1_sel:DWORD
	v_mul_f16_sdwa v78, v39, v34 dst_sel:DWORD dst_unused:UNUSED_PAD src0_sel:WORD_1 src1_sel:DWORD
	;; [unrolled: 1-line block ×3, first 2 shown]
	v_fma_f16 v72, v39, v74, -v72
	v_mul_f16_sdwa v74, v39, v70 dst_sel:DWORD dst_unused:UNUSED_PAD src0_sel:WORD_1 src1_sel:DWORD
	v_lshrrev_b32_e32 v73, 16, v29
	v_lshrrev_b32_e32 v75, 16, v30
	v_fmac_f16_e32 v33, v39, v34
	v_fma_f16 v34, v39, v77, -v78
	v_fmac_f16_e32 v80, v39, v70
	v_sub_f16_e32 v70, v31, v76
	v_fma_f16 v39, v39, v71, -v74
	v_sub_f16_e32 v71, v54, v55
	v_sub_f16_e32 v74, v32, v79
	;; [unrolled: 1-line block ×7, first 2 shown]
	v_fma_f16 v77, v31, 2.0, -v70
	v_fma_f16 v54, v54, 2.0, -v71
	v_sub_f16_e32 v31, v37, v80
	v_sub_f16_e32 v36, v69, v39
	v_fma_f16 v32, v32, 2.0, -v74
	v_fma_f16 v56, v56, 2.0, -v76
	;; [unrolled: 1-line block ×8, first 2 shown]
	v_pack_b32_f16 v54, v77, v54
	v_pack_b32_f16 v69, v70, v71
	;; [unrolled: 1-line block ×8, first 2 shown]
	s_barrier
	buffer_gl0_inv
	ds_write2_b32 v57, v54, v69 offset1:4
	ds_write2_b32 v58, v32, v56 offset1:4
	;; [unrolled: 1-line block ×4, first 2 shown]
	s_and_saveexec_b32 s2, s0
	s_cbranch_execz .LBB0_29
; %bb.28:
	v_and_or_b32 v29, 0x7f8, v52, v38
	v_perm_b32 v30, v55, v37, 0x5040100
	v_perm_b32 v32, v36, v31, 0x5040100
	v_lshlrev_b32_e32 v29, 2, v29
	ds_write2_b32 v29, v30, v32 offset1:4
.LBB0_29:
	s_or_b32 exec_lo, exec_lo, s2
	v_add_nc_u32_e32 v29, 0xc00, v40
	v_add_nc_u32_e32 v30, 0x500, v40
	;; [unrolled: 1-line block ×3, first 2 shown]
	s_waitcnt lgkmcnt(0)
	s_barrier
	buffer_gl0_inv
	ds_read2_b32 v[32:33], v40 offset1:176
	ds_read2_b32 v[34:35], v29 offset0:24 offset1:200
	ds_read2_b32 v[38:39], v30 offset0:32 offset1:208
	ds_read2_b32 v[29:30], v54 offset0:56 offset1:232
	s_and_saveexec_b32 s2, s0
	s_cbranch_execz .LBB0_31
; %bb.30:
	ds_read_b32 v37, v40 offset:2816
	ds_read_b32 v31, v40 offset:5984
	s_waitcnt lgkmcnt(1)
	v_lshrrev_b32_e32 v55, 16, v37
	s_waitcnt lgkmcnt(0)
	v_lshrrev_b32_e32 v36, 16, v31
.LBB0_31:
	s_or_b32 exec_lo, exec_lo, s2
	s_waitcnt lgkmcnt(2)
	v_lshrrev_b32_e32 v56, 16, v34
	v_lshrrev_b32_e32 v58, 16, v35
	s_waitcnt lgkmcnt(0)
	v_lshrrev_b32_e32 v59, 16, v29
	v_lshrrev_b32_e32 v70, 16, v30
	v_mul_f16_sdwa v71, v63, v34 dst_sel:DWORD dst_unused:UNUSED_PAD src0_sel:WORD_1 src1_sel:DWORD
	v_mul_f16_sdwa v69, v63, v56 dst_sel:DWORD dst_unused:UNUSED_PAD src0_sel:WORD_1 src1_sel:DWORD
	;; [unrolled: 1-line block ×4, first 2 shown]
	v_lshrrev_b32_e32 v54, 16, v32
	v_fma_f16 v56, v63, v56, -v71
	v_fmac_f16_e32 v69, v63, v34
	v_mul_f16_sdwa v34, v63, v59 dst_sel:DWORD dst_unused:UNUSED_PAD src0_sel:WORD_1 src1_sel:DWORD
	v_fmac_f16_e32 v73, v63, v35
	v_fma_f16 v35, v63, v58, -v74
	v_mul_f16_sdwa v58, v63, v29 dst_sel:DWORD dst_unused:UNUSED_PAD src0_sel:WORD_1 src1_sel:DWORD
	v_mul_f16_sdwa v71, v63, v70 dst_sel:DWORD dst_unused:UNUSED_PAD src0_sel:WORD_1 src1_sel:DWORD
	v_fmac_f16_e32 v34, v63, v29
	v_mul_f16_sdwa v29, v63, v30 dst_sel:DWORD dst_unused:UNUSED_PAD src0_sel:WORD_1 src1_sel:DWORD
	v_mul_f16_sdwa v74, v63, v36 dst_sel:DWORD dst_unused:UNUSED_PAD src0_sel:WORD_1 src1_sel:DWORD
	v_fma_f16 v59, v63, v59, -v58
	v_mul_f16_sdwa v58, v63, v31 dst_sel:DWORD dst_unused:UNUSED_PAD src0_sel:WORD_1 src1_sel:DWORD
	v_fmac_f16_e32 v71, v63, v30
	v_sub_f16_e32 v30, v32, v69
	v_lshrrev_b32_e32 v57, 16, v33
	v_lshrrev_b32_e32 v60, 16, v38
	v_lshrrev_b32_e32 v72, 16, v39
	v_fma_f16 v75, v63, v70, -v29
	v_fmac_f16_e32 v74, v63, v31
	v_fma_f16 v63, v63, v36, -v58
	v_sub_f16_e32 v69, v54, v56
	v_fma_f16 v29, v32, 2.0, -v30
	v_sub_f16_e32 v32, v38, v34
	v_sub_f16_e32 v36, v33, v73
	;; [unrolled: 1-line block ×6, first 2 shown]
	v_fma_f16 v54, v54, 2.0, -v69
	v_fma_f16 v31, v38, 2.0, -v32
	v_sub_f16_e32 v38, v37, v74
	v_sub_f16_e32 v71, v55, v63
	v_fma_f16 v35, v33, 2.0, -v36
	v_fma_f16 v70, v57, 2.0, -v58
	;; [unrolled: 1-line block ×7, first 2 shown]
	v_pack_b32_f16 v39, v29, v54
	v_pack_b32_f16 v55, v30, v69
	;; [unrolled: 1-line block ×8, first 2 shown]
	s_barrier
	buffer_gl0_inv
	ds_write2_b32 v64, v39, v55 offset1:8
	ds_write2_b32 v65, v72, v73 offset1:8
	;; [unrolled: 1-line block ×4, first 2 shown]
	s_and_saveexec_b32 s2, s0
	s_cbranch_execz .LBB0_33
; %bb.32:
	v_and_or_b32 v39, 0x7f0, v52, v53
	v_perm_b32 v52, v63, v37, 0x5040100
	v_perm_b32 v53, v71, v38, 0x5040100
	v_lshlrev_b32_e32 v39, 2, v39
	ds_write2_b32 v39, v52, v53 offset1:8
.LBB0_33:
	s_or_b32 exec_lo, exec_lo, s2
	s_waitcnt lgkmcnt(0)
	s_barrier
	buffer_gl0_inv
	s_and_saveexec_b32 s0, s1
	s_cbranch_execz .LBB0_35
; %bb.34:
	v_add_nc_u32_e32 v31, 0x400, v40
	v_add_nc_u32_e32 v32, 0x800, v40
	;; [unrolled: 1-line block ×4, first 2 shown]
	ds_read2_b32 v[29:30], v40 offset1:144
	ds_read2_b32 v[35:36], v31 offset0:32 offset1:176
	ds_read2_b32 v[31:32], v32 offset0:64 offset1:208
	;; [unrolled: 1-line block ×3, first 2 shown]
	ds_read2_b32 v[37:38], v37 offset1:144
	ds_read_b32 v61, v40 offset:5760
	s_waitcnt lgkmcnt(3)
	v_lshrrev_b32_e32 v60, 16, v31
	v_lshrrev_b32_e32 v54, 16, v29
	;; [unrolled: 1-line block ×6, first 2 shown]
	s_waitcnt lgkmcnt(2)
	v_lshrrev_b32_e32 v57, 16, v33
	v_lshrrev_b32_e32 v59, 16, v34
	s_waitcnt lgkmcnt(1)
	v_lshrrev_b32_e32 v63, 16, v37
	v_lshrrev_b32_e32 v71, 16, v38
	s_waitcnt lgkmcnt(0)
	v_lshrrev_b32_e32 v62, 16, v61
.LBB0_35:
	s_or_b32 exec_lo, exec_lo, s0
	s_barrier
	buffer_gl0_inv
	s_and_saveexec_b32 s0, s1
	s_cbranch_execz .LBB0_37
; %bb.36:
	v_mul_f16_sdwa v53, v4, v69 dst_sel:DWORD dst_unused:UNUSED_PAD src0_sel:WORD_1 src1_sel:DWORD
	v_mul_f16_sdwa v39, v18, v62 dst_sel:DWORD dst_unused:UNUSED_PAD src0_sel:WORD_1 src1_sel:DWORD
	v_mul_f16_sdwa v55, v5, v70 dst_sel:DWORD dst_unused:UNUSED_PAD src0_sel:WORD_1 src1_sel:DWORD
	v_mul_f16_sdwa v52, v17, v71 dst_sel:DWORD dst_unused:UNUSED_PAD src0_sel:WORD_1 src1_sel:DWORD
	v_fmac_f16_e32 v53, v4, v30
	v_fmac_f16_e32 v39, v18, v61
	v_mul_f16_sdwa v61, v18, v61 dst_sel:DWORD dst_unused:UNUSED_PAD src0_sel:WORD_1 src1_sel:DWORD
	v_mul_f16_sdwa v30, v4, v30 dst_sel:DWORD dst_unused:UNUSED_PAD src0_sel:WORD_1 src1_sel:DWORD
	v_fmac_f16_e32 v55, v5, v35
	v_fmac_f16_e32 v52, v17, v38
	v_sub_f16_e32 v64, v53, v39
	v_mul_f16_sdwa v38, v17, v38 dst_sel:DWORD dst_unused:UNUSED_PAD src0_sel:WORD_1 src1_sel:DWORD
	v_mul_f16_sdwa v35, v5, v35 dst_sel:DWORD dst_unused:UNUSED_PAD src0_sel:WORD_1 src1_sel:DWORD
	v_fma_f16 v18, v18, v62, -v61
	v_fma_f16 v30, v4, v69, -v30
	v_sub_f16_e32 v61, v55, v52
	v_fma_f16 v4, v17, v71, -v38
	v_fma_f16 v35, v5, v70, -v35
	v_mul_f16_e32 v38, 0xb853, v64
	v_add_f16_e32 v62, v18, v30
	v_mul_f16_e32 v17, 0xbb47, v61
	v_mul_f16_sdwa v5, v3, v63 dst_sel:DWORD dst_unused:UNUSED_PAD src0_sel:WORD_1 src1_sel:DWORD
	v_add_f16_e32 v65, v4, v35
	v_mul_f16_sdwa v70, v3, v37 dst_sel:DWORD dst_unused:UNUSED_PAD src0_sel:WORD_1 src1_sel:DWORD
	v_fmamk_f16 v66, v62, 0x3abb, v38
	v_mul_f16_sdwa v69, v6, v58 dst_sel:DWORD dst_unused:UNUSED_PAD src0_sel:WORD_1 src1_sel:DWORD
	v_fmac_f16_e32 v5, v3, v37
	v_fmamk_f16 v67, v65, 0x36a6, v17
	v_sub_f16_e32 v72, v30, v18
	v_add_f16_e32 v66, v54, v66
	v_fmac_f16_e32 v69, v6, v36
	v_mul_f16_sdwa v36, v6, v36 dst_sel:DWORD dst_unused:UNUSED_PAD src0_sel:WORD_1 src1_sel:DWORD
	v_fma_f16 v3, v3, v63, -v70
	v_add_f16_e32 v73, v39, v53
	v_add_f16_e32 v37, v67, v66
	v_mul_f16_sdwa v67, v2, v59 dst_sel:DWORD dst_unused:UNUSED_PAD src0_sel:WORD_1 src1_sel:DWORD
	v_mul_f16_sdwa v66, v7, v60 dst_sel:DWORD dst_unused:UNUSED_PAD src0_sel:WORD_1 src1_sel:DWORD
	v_sub_f16_e32 v71, v69, v5
	v_fma_f16 v6, v6, v58, -v36
	v_mul_f16_e32 v74, 0xb853, v72
	v_fmac_f16_e32 v67, v2, v34
	v_mul_f16_sdwa v34, v2, v34 dst_sel:DWORD dst_unused:UNUSED_PAD src0_sel:WORD_1 src1_sel:DWORD
	v_fmac_f16_e32 v66, v7, v31
	v_mul_f16_sdwa v31, v7, v31 dst_sel:DWORD dst_unused:UNUSED_PAD src0_sel:WORD_1 src1_sel:DWORD
	v_sub_f16_e32 v76, v35, v4
	v_mul_f16_e32 v36, 0xbbeb, v71
	v_fma_f16 v2, v2, v59, -v34
	v_mul_f16_sdwa v59, v1, v57 dst_sel:DWORD dst_unused:UNUSED_PAD src0_sel:WORD_1 src1_sel:DWORD
	v_fma_f16 v7, v7, v60, -v31
	v_mul_f16_sdwa v31, v0, v56 dst_sel:DWORD dst_unused:UNUSED_PAD src0_sel:WORD_1 src1_sel:DWORD
	v_add_f16_e32 v58, v3, v6
	v_sub_f16_e32 v63, v66, v67
	v_fmac_f16_e32 v59, v1, v33
	v_mul_f16_sdwa v33, v1, v33 dst_sel:DWORD dst_unused:UNUSED_PAD src0_sel:WORD_1 src1_sel:DWORD
	v_fmac_f16_e32 v31, v0, v32
	v_mul_f16_sdwa v32, v0, v32 dst_sel:DWORD dst_unused:UNUSED_PAD src0_sel:WORD_1 src1_sel:DWORD
	v_fma_f16 v77, v73, 0x3abb, -v74
	v_add_f16_e32 v78, v52, v55
	v_mul_f16_e32 v79, 0xbb47, v76
	v_fma_f16 v1, v1, v57, -v33
	v_sub_f16_e32 v33, v6, v3
	v_fmamk_f16 v34, v58, 0xb08e, v36
	v_mul_f16_e32 v60, 0xba0c, v63
	v_add_f16_e32 v70, v2, v7
	v_fma_f16 v0, v0, v56, -v32
	v_add_f16_e32 v32, v29, v77
	v_fma_f16 v56, v78, 0x36a6, -v79
	v_add_f16_e32 v57, v5, v69
	v_mul_f16_e32 v77, 0xbbeb, v33
	v_sub_f16_e32 v81, v7, v2
	v_add_f16_e32 v34, v34, v37
	v_fmamk_f16 v37, v70, 0xb93d, v60
	v_sub_f16_e32 v75, v31, v59
	v_add_f16_e32 v32, v56, v32
	v_fma_f16 v56, v57, 0xb08e, -v77
	v_add_f16_e32 v83, v67, v66
	v_mul_f16_e32 v84, 0xba0c, v81
	v_mul_f16_e32 v80, 0xb482, v75
	v_add_f16_e32 v82, v1, v0
	v_add_f16_e32 v34, v37, v34
	v_mul_f16_e32 v37, 0xbb47, v64
	v_add_f16_e32 v32, v56, v32
	v_fma_f16 v56, v83, 0xb93d, -v84
	v_fmamk_f16 v85, v82, 0xbbad, v80
	v_mul_f16_e32 v87, 0xba0c, v61
	v_fmamk_f16 v86, v62, 0x36a6, v37
	v_mul_f16_e32 v88, 0x3482, v71
	v_add_f16_e32 v32, v56, v32
	v_sub_f16_e32 v56, v0, v1
	v_add_f16_e32 v34, v85, v34
	v_add_f16_e32 v85, v54, v86
	v_fmamk_f16 v86, v65, 0xb93d, v87
	v_add_f16_e32 v89, v59, v31
	v_mul_f16_e32 v90, 0xb482, v56
	v_mul_f16_e32 v91, 0xbb47, v72
	;; [unrolled: 1-line block ×3, first 2 shown]
	v_add_f16_e32 v85, v86, v85
	v_fmamk_f16 v86, v58, 0xbbad, v88
	v_fma_f16 v93, v89, 0xbbad, -v90
	v_fma_f16 v94, v73, 0x36a6, -v91
	v_mul_f16_e32 v95, 0xba0c, v76
	v_mul_f16_e32 v96, 0x3482, v33
	v_add_f16_e32 v85, v86, v85
	v_fmamk_f16 v86, v70, 0xb08e, v92
	v_add_f16_e32 v32, v93, v32
	v_add_f16_e32 v93, v29, v94
	v_fma_f16 v94, v78, 0xb93d, -v95
	v_mul_f16_e32 v97, 0xbbeb, v64
	v_add_f16_e32 v85, v86, v85
	v_mul_f16_e32 v86, 0x3853, v75
	v_mul_f16_e32 v98, 0x3beb, v81
	v_add_f16_e32 v93, v94, v93
	v_fma_f16 v94, v57, 0xbbad, -v96
	v_fmamk_f16 v100, v62, 0xb08e, v97
	v_fmamk_f16 v99, v82, 0x3abb, v86
	v_mul_f16_e32 v101, 0x3482, v61
	v_mul_f16_e32 v102, 0x3b47, v71
	v_add_f16_e32 v93, v94, v93
	v_fma_f16 v94, v83, 0xb08e, -v98
	v_add_f16_e32 v85, v99, v85
	v_add_f16_e32 v99, v54, v100
	v_fmamk_f16 v100, v65, 0xbbad, v101
	v_mul_f16_e32 v103, 0xbbeb, v72
	v_add_f16_e32 v93, v94, v93
	v_mul_f16_e32 v94, 0x3853, v56
	v_mul_f16_e32 v104, 0xb853, v63
	v_add_f16_e32 v99, v100, v99
	v_fmamk_f16 v100, v58, 0x36a6, v102
	v_fma_f16 v106, v73, 0xb08e, -v103
	v_fma_f16 v105, v89, 0x3abb, -v94
	v_mul_f16_e32 v107, 0x3482, v76
	v_mul_f16_e32 v108, 0x3b47, v33
	v_add_f16_e32 v99, v100, v99
	v_fmamk_f16 v100, v70, 0x3abb, v104
	v_add_f16_e32 v93, v105, v93
	v_add_f16_e32 v105, v29, v106
	v_fma_f16 v106, v78, 0xbbad, -v107
	v_mul_f16_e32 v109, 0xba0c, v64
	v_add_f16_e32 v99, v100, v99
	v_mul_f16_e32 v100, 0xba0c, v75
	v_mul_f16_e32 v110, 0xb853, v81
	v_add_f16_e32 v105, v106, v105
	v_fma_f16 v106, v57, 0x36a6, -v108
	v_fmamk_f16 v112, v62, 0xb93d, v109
	v_fmamk_f16 v111, v82, 0xb93d, v100
	v_mul_f16_e32 v113, 0x3beb, v61
	v_mul_f16_e32 v114, 0xb853, v71
	v_add_f16_e32 v105, v106, v105
	v_fma_f16 v106, v83, 0x3abb, -v110
	v_add_f16_e32 v99, v111, v99
	v_add_f16_e32 v111, v54, v112
	v_fmamk_f16 v112, v65, 0xb08e, v113
	v_mul_f16_e32 v115, 0xba0c, v72
	v_add_f16_e32 v105, v106, v105
	v_mul_f16_e32 v106, 0xba0c, v56
	v_mul_f16_e32 v116, 0xb482, v63
	;; [unrolled: 30-line block ×3, first 2 shown]
	v_add_f16_e32 v122, v123, v122
	v_fmamk_f16 v123, v58, 0xb93d, v71
	v_fma_f16 v125, v73, 0xbbad, -v72
	v_fma_f16 v124, v89, 0x36a6, -v118
	v_mul_f16_e32 v76, 0x3853, v76
	v_fma_f16 v64, v62, 0xbbad, -v64
	v_add_f16_e32 v122, v123, v122
	v_fmamk_f16 v123, v70, 0x36a6, v63
	v_add_f16_e32 v117, v124, v117
	v_add_f16_e32 v124, v29, v125
	v_fma_f16 v125, v78, 0x3abb, -v76
	v_mul_f16_e32 v33, 0xba0c, v33
	v_add_f16_e32 v64, v54, v64
	v_fma_f16 v61, v65, 0x3abb, -v61
	v_add_f16_e32 v122, v123, v122
	v_add_f16_e32 v123, v125, v124
	v_fma_f16 v124, v57, 0xb93d, -v33
	v_mul_f16_e32 v81, 0x3b47, v81
	v_fmac_f16_e32 v72, 0xbbad, v73
	v_add_f16_e32 v61, v61, v64
	v_fma_f16 v64, v58, 0xb93d, -v71
	v_mul_f16_e32 v75, 0xbbeb, v75
	v_add_f16_e32 v123, v124, v123
	v_fma_f16 v124, v83, 0x36a6, -v81
	v_mul_f16_e32 v56, 0xbbeb, v56
	v_add_f16_e32 v72, v29, v72
	v_fmac_f16_e32 v76, 0x3abb, v78
	v_add_f16_e32 v61, v64, v61
	v_fma_f16 v63, v70, 0x36a6, -v63
	v_fma_f16 v109, v62, 0xb93d, -v109
	v_fmamk_f16 v125, v82, 0xb08e, v75
	v_add_f16_e32 v71, v124, v123
	v_fma_f16 v64, v89, 0xb08e, -v56
	v_add_f16_e32 v72, v76, v72
	v_fmac_f16_e32 v33, 0xb93d, v57
	v_add_f16_e32 v61, v63, v61
	v_fma_f16 v63, v82, 0xb08e, -v75
	v_add_f16_e32 v75, v54, v109
	v_fma_f16 v76, v65, 0xb08e, -v113
	v_add_f16_e32 v33, v33, v72
	v_add_f16_e32 v64, v64, v71
	;; [unrolled: 1-line block ×3, first 2 shown]
	v_fma_f16 v71, v58, 0x3abb, -v114
	v_add_f16_e32 v63, v76, v75
	v_fmac_f16_e32 v115, 0xb93d, v73
	v_fma_f16 v72, v62, 0xb08e, -v97
	v_add_f16_e32 v53, v29, v53
	v_add_f16_e32 v30, v30, v54
	;; [unrolled: 1-line block ×3, first 2 shown]
	v_fma_f16 v71, v70, 0xbbad, -v116
	v_add_f16_e32 v75, v29, v115
	v_fmac_f16_e32 v119, 0xb08e, v78
	v_add_f16_e32 v72, v54, v72
	v_fma_f16 v76, v65, 0xbbad, -v101
	v_add_f16_e32 v53, v55, v53
	v_add_f16_e32 v30, v35, v30
	;; [unrolled: 1-line block ×3, first 2 shown]
	v_fma_f16 v71, v82, 0x36a6, -v112
	v_add_f16_e32 v75, v119, v75
	v_fmac_f16_e32 v120, 0x3abb, v57
	v_add_f16_e32 v72, v76, v72
	v_fma_f16 v76, v58, 0x36a6, -v102
	v_fmac_f16_e32 v103, 0xb08e, v73
	v_add_f16_e32 v53, v69, v53
	v_add_f16_e32 v6, v6, v30
	;; [unrolled: 1-line block ×5, first 2 shown]
	v_fma_f16 v75, v70, 0x3abb, -v104
	v_add_f16_e32 v76, v29, v103
	v_fmac_f16_e32 v107, 0xbbad, v78
	v_fmac_f16_e32 v91, 0x36a6, v73
	v_fma_f16 v38, v62, 0x3abb, -v38
	v_fmac_f16_e32 v74, 0x3abb, v73
	v_add_f16_e32 v53, v66, v53
	v_add_f16_e32 v6, v7, v6
	;; [unrolled: 1-line block ×4, first 2 shown]
	v_fma_f16 v76, v65, 0xb93d, -v87
	v_add_f16_e32 v87, v29, v91
	v_add_f16_e32 v38, v54, v38
	v_fma_f16 v7, v65, 0x36a6, -v17
	v_add_f16_e32 v17, v29, v74
	v_add_f16_e32 v29, v31, v53
	;; [unrolled: 1-line block ×3, first 2 shown]
	v_fmac_f16_e32 v81, 0x36a6, v83
	v_fma_f16 v37, v62, 0x36a6, -v37
	v_fmac_f16_e32 v79, 0x36a6, v78
	v_add_f16_e32 v6, v7, v38
	v_fma_f16 v7, v58, 0xb08e, -v36
	v_add_f16_e32 v29, v59, v29
	v_add_f16_e32 v0, v1, v0
	;; [unrolled: 1-line block ×4, first 2 shown]
	v_fma_f16 v81, v82, 0xb93d, -v100
	v_fmac_f16_e32 v95, 0xb93d, v78
	v_add_f16_e32 v17, v79, v17
	v_fmac_f16_e32 v77, 0xb08e, v57
	v_add_f16_e32 v1, v7, v6
	v_add_f16_e32 v6, v67, v29
	;; [unrolled: 1-line block ×3, first 2 shown]
	v_fmac_f16_e32 v108, 0x36a6, v57
	v_add_f16_e32 v37, v76, v37
	v_fma_f16 v76, v58, 0xbbad, -v88
	v_add_f16_e32 v72, v81, v72
	v_add_f16_e32 v81, v95, v87
	v_fmac_f16_e32 v96, 0xbbad, v57
	v_fma_f16 v7, v70, 0xb93d, -v60
	v_add_f16_e32 v2, v77, v17
	v_fmac_f16_e32 v84, 0xb93d, v83
	v_add_f16_e32 v5, v5, v6
	v_add_f16_e32 v0, v3, v0
	;; [unrolled: 1-line block ×3, first 2 shown]
	v_fmac_f16_e32 v110, 0x3abb, v83
	v_add_f16_e32 v37, v76, v37
	v_fma_f16 v76, v70, 0xb08e, -v92
	v_add_f16_e32 v55, v96, v81
	v_fmac_f16_e32 v98, 0xb08e, v83
	v_add_f16_e32 v1, v7, v1
	v_fma_f16 v3, v82, 0xbbad, -v80
	v_add_f16_e32 v2, v84, v2
	v_add_f16_e32 v5, v52, v5
	v_mul_u32_u24_e32 v6, 0xb0, v51
	v_add_f16_e32 v0, v4, v0
	v_fmac_f16_e32 v90, 0xbbad, v89
	v_fmac_f16_e32 v121, 0xbbad, v83
	v_add_f16_e32 v75, v110, v75
	v_fmac_f16_e32 v106, 0xb93d, v89
	v_add_f16_e32 v37, v76, v37
	v_fma_f16 v35, v82, 0x3abb, -v86
	v_add_f16_e32 v30, v98, v55
	v_add_f16_e32 v1, v3, v1
	;; [unrolled: 1-line block ×3, first 2 shown]
	v_or_b32_e32 v4, v6, v50
	v_add_f16_e32 v0, v18, v0
	v_add_f16_e32 v2, v90, v2
	v_fmac_f16_e32 v94, 0x3abb, v89
	v_fmac_f16_e32 v56, 0xb08e, v89
	v_add_f16_e32 v71, v121, v71
	v_fmac_f16_e32 v118, 0x36a6, v89
	v_add_f16_e32 v5, v35, v37
	v_lshlrev_b32_e32 v4, 2, v4
	v_pack_b32_f16 v0, v3, v0
	v_pack_b32_f16 v1, v2, v1
	v_add_f16_e32 v2, v94, v30
	v_add_f16_e32 v3, v106, v75
	;; [unrolled: 1-line block ×5, first 2 shown]
	ds_write2_b32 v4, v0, v1 offset1:16
	v_pack_b32_f16 v0, v2, v5
	v_pack_b32_f16 v1, v3, v72
	;; [unrolled: 1-line block ×9, first 2 shown]
	ds_write2_b32 v4, v0, v1 offset0:32 offset1:48
	ds_write2_b32 v4, v2, v3 offset0:64 offset1:80
	;; [unrolled: 1-line block ×4, first 2 shown]
	ds_write_b32 v4, v18 offset:640
.LBB0_37:
	s_or_b32 exec_lo, exec_lo, s0
	v_add_nc_u32_e32 v17, 0x500, v40
	v_add_nc_u32_e32 v18, 0x1000, v40
	;; [unrolled: 1-line block ×3, first 2 shown]
	s_waitcnt lgkmcnt(0)
	s_barrier
	buffer_gl0_inv
	ds_read2_b32 v[0:1], v40 offset1:176
	ds_read_b32 v30, v40 offset:5632
	ds_read2_b32 v[2:3], v17 offset0:32 offset1:208
	ds_read2_b32 v[4:5], v18 offset0:32 offset1:208
	;; [unrolled: 1-line block ×3, first 2 shown]
	s_waitcnt lgkmcnt(0)
	s_barrier
	buffer_gl0_inv
	s_mov_b32 s4, 0xa052bf5b
	s_mov_b32 s5, 0x3f44afd6
	v_lshrrev_b32_e32 v33, 16, v30
	v_lshrrev_b32_e32 v34, 16, v3
	;; [unrolled: 1-line block ×3, first 2 shown]
	v_mul_f16_sdwa v50, v19, v3 dst_sel:DWORD dst_unused:UNUSED_PAD src0_sel:WORD_1 src1_sel:DWORD
	v_lshrrev_b32_e32 v36, 16, v6
	v_lshrrev_b32_e32 v37, 16, v5
	;; [unrolled: 1-line block ×3, first 2 shown]
	v_mul_f16_sdwa v51, v20, v4 dst_sel:DWORD dst_unused:UNUSED_PAD src0_sel:WORD_1 src1_sel:DWORD
	v_mul_f16_sdwa v52, v19, v6 dst_sel:DWORD dst_unused:UNUSED_PAD src0_sel:WORD_1 src1_sel:DWORD
	;; [unrolled: 1-line block ×3, first 2 shown]
	v_fma_f16 v34, v19, v34, -v50
	v_mul_f16_sdwa v50, v20, v35 dst_sel:DWORD dst_unused:UNUSED_PAD src0_sel:WORD_1 src1_sel:DWORD
	v_mul_f16_sdwa v53, v20, v5 dst_sel:DWORD dst_unused:UNUSED_PAD src0_sel:WORD_1 src1_sel:DWORD
	v_fma_f16 v35, v20, v35, -v51
	v_mul_f16_sdwa v51, v19, v36 dst_sel:DWORD dst_unused:UNUSED_PAD src0_sel:WORD_1 src1_sel:DWORD
	v_fma_f16 v36, v19, v36, -v52
	v_mul_f16_sdwa v52, v20, v37 dst_sel:DWORD dst_unused:UNUSED_PAD src0_sel:WORD_1 src1_sel:DWORD
	v_mul_f16_sdwa v55, v21, v39 dst_sel:DWORD dst_unused:UNUSED_PAD src0_sel:WORD_1 src1_sel:DWORD
	v_fmac_f16_e32 v54, v19, v3
	v_fmac_f16_e32 v50, v20, v4
	v_lshrrev_b32_e32 v31, 16, v0
	v_fmac_f16_e32 v52, v20, v5
	v_mul_f16_sdwa v3, v21, v7 dst_sel:DWORD dst_unused:UNUSED_PAD src0_sel:WORD_1 src1_sel:DWORD
	v_fma_f16 v4, v20, v37, -v53
	v_fmac_f16_e32 v55, v21, v7
	v_add_f16_e32 v7, v54, v50
	v_add_f16_e32 v20, v34, v35
	v_fmac_f16_e32 v51, v19, v6
	v_mul_f16_sdwa v5, v22, v33 dst_sel:DWORD dst_unused:UNUSED_PAD src0_sel:WORD_1 src1_sel:DWORD
	v_mul_f16_sdwa v6, v22, v30 dst_sel:DWORD dst_unused:UNUSED_PAD src0_sel:WORD_1 src1_sel:DWORD
	v_fma_f16 v3, v21, v39, -v3
	v_add_f16_e32 v19, v0, v54
	v_fma_f16 v0, -0.5, v7, v0
	v_sub_f16_e32 v7, v34, v35
	v_add_f16_e32 v21, v31, v34
	v_fmac_f16_e32 v31, -0.5, v20
	v_sub_f16_e32 v20, v54, v50
	v_lshrrev_b32_e32 v32, 16, v1
	v_fmac_f16_e32 v5, v22, v30
	v_fma_f16 v6, v22, v33, -v6
	v_fmamk_f16 v22, v7, 0xbaee, v0
	v_fmac_f16_e32 v0, 0x3aee, v7
	v_add_f16_e32 v7, v21, v35
	v_add_f16_e32 v21, v51, v52
	v_fmamk_f16 v30, v20, 0x3aee, v31
	v_fmac_f16_e32 v31, 0xbaee, v20
	v_add_f16_e32 v20, v36, v4
	v_add_f16_e32 v33, v1, v51
	v_fmac_f16_e32 v1, -0.5, v21
	v_sub_f16_e32 v21, v36, v4
	v_add_f16_e32 v34, v32, v36
	v_fmac_f16_e32 v32, -0.5, v20
	v_sub_f16_e32 v20, v51, v52
	v_lshrrev_b32_e32 v38, 16, v2
	v_fmamk_f16 v35, v21, 0xbaee, v1
	v_fmac_f16_e32 v1, 0x3aee, v21
	v_add_f16_e32 v4, v34, v4
	v_add_f16_e32 v21, v55, v5
	v_fmamk_f16 v34, v20, 0x3aee, v32
	v_fmac_f16_e32 v32, 0xbaee, v20
	v_add_f16_e32 v20, v3, v6
	v_add_f16_e32 v36, v2, v55
	v_fmac_f16_e32 v2, -0.5, v21
	v_sub_f16_e32 v21, v3, v6
	v_add_f16_e32 v3, v38, v3
	v_fmac_f16_e32 v38, -0.5, v20
	v_sub_f16_e32 v20, v55, v5
	v_add_f16_e32 v19, v19, v50
	v_add_f16_e32 v33, v33, v52
	v_add_f16_e32 v5, v36, v5
	v_fmamk_f16 v36, v21, 0xbaee, v2
	v_add_f16_e32 v3, v3, v6
	v_fmamk_f16 v6, v20, 0x3aee, v38
	v_fmac_f16_e32 v2, 0x3aee, v21
	v_fmac_f16_e32 v38, 0xbaee, v20
	v_pack_b32_f16 v7, v19, v7
	v_pack_b32_f16 v19, v22, v30
	;; [unrolled: 1-line block ×8, first 2 shown]
	v_add_nc_u32_e32 v6, 0x1000, v68
	v_pack_b32_f16 v2, v2, v38
	ds_write2_b32 v40, v7, v19 offset1:176
	ds_write2_b32 v17, v0, v4 offset0:32 offset1:208
	ds_write2_b32 v29, v20, v1 offset0:64 offset1:240
	;; [unrolled: 1-line block ×3, first 2 shown]
	ds_write_b32 v68, v2 offset:5632
	s_waitcnt lgkmcnt(0)
	s_barrier
	buffer_gl0_inv
	ds_read2_b32 v[0:1], v40 offset1:176
	ds_read2_b32 v[2:3], v17 offset0:32 offset1:208
	ds_read2_b32 v[4:5], v18 offset0:32 offset1:208
	;; [unrolled: 1-line block ×3, first 2 shown]
	ds_read_b32 v17, v40 offset:5632
	s_waitcnt lgkmcnt(4)
	v_lshrrev_b32_e32 v18, 16, v0
	s_waitcnt lgkmcnt(3)
	v_lshrrev_b32_e32 v19, 16, v3
	;; [unrolled: 2-line block ×4, first 2 shown]
	v_lshrrev_b32_e32 v30, 16, v5
	v_mul_f16_sdwa v34, v27, v3 dst_sel:DWORD dst_unused:UNUSED_PAD src0_sel:WORD_1 src1_sel:DWORD
	v_mul_f16_sdwa v32, v27, v19 dst_sel:DWORD dst_unused:UNUSED_PAD src0_sel:WORD_1 src1_sel:DWORD
	;; [unrolled: 1-line block ×3, first 2 shown]
	v_lshrrev_b32_e32 v33, 16, v7
	s_waitcnt lgkmcnt(0)
	v_lshrrev_b32_e32 v35, 16, v17
	v_fma_f16 v19, v27, v19, -v34
	v_fmac_f16_e32 v32, v27, v3
	v_mul_f16_sdwa v3, v28, v4 dst_sel:DWORD dst_unused:UNUSED_PAD src0_sel:WORD_1 src1_sel:DWORD
	v_mul_f16_sdwa v27, v25, v22 dst_sel:DWORD dst_unused:UNUSED_PAD src0_sel:WORD_1 src1_sel:DWORD
	v_fmac_f16_e32 v36, v28, v4
	v_mul_f16_sdwa v4, v25, v6 dst_sel:DWORD dst_unused:UNUSED_PAD src0_sel:WORD_1 src1_sel:DWORD
	v_lshrrev_b32_e32 v21, 16, v1
	v_fma_f16 v3, v28, v20, -v3
	v_mul_f16_sdwa v20, v26, v30 dst_sel:DWORD dst_unused:UNUSED_PAD src0_sel:WORD_1 src1_sel:DWORD
	v_fmac_f16_e32 v27, v25, v6
	v_mul_f16_sdwa v6, v26, v5 dst_sel:DWORD dst_unused:UNUSED_PAD src0_sel:WORD_1 src1_sel:DWORD
	v_fma_f16 v4, v25, v22, -v4
	v_mul_f16_sdwa v22, v23, v33 dst_sel:DWORD dst_unused:UNUSED_PAD src0_sel:WORD_1 src1_sel:DWORD
	v_fmac_f16_e32 v20, v26, v5
	v_mul_f16_sdwa v5, v23, v7 dst_sel:DWORD dst_unused:UNUSED_PAD src0_sel:WORD_1 src1_sel:DWORD
	v_mul_f16_sdwa v25, v24, v35 dst_sel:DWORD dst_unused:UNUSED_PAD src0_sel:WORD_1 src1_sel:DWORD
	v_fma_f16 v6, v26, v30, -v6
	v_fmac_f16_e32 v22, v23, v7
	v_mul_f16_sdwa v7, v24, v17 dst_sel:DWORD dst_unused:UNUSED_PAD src0_sel:WORD_1 src1_sel:DWORD
	v_fma_f16 v5, v23, v33, -v5
	v_add_f16_e32 v23, v32, v36
	v_fmac_f16_e32 v25, v24, v17
	v_add_f16_e32 v17, v0, v32
	v_fma_f16 v7, v24, v35, -v7
	v_add_f16_e32 v24, v19, v3
	v_fma_f16 v0, -0.5, v23, v0
	v_sub_f16_e32 v23, v19, v3
	v_add_f16_e32 v19, v18, v19
	v_add_f16_e32 v28, v1, v27
	v_fmac_f16_e32 v18, -0.5, v24
	v_sub_f16_e32 v24, v32, v36
	v_lshrrev_b32_e32 v31, 16, v2
	v_add_f16_e32 v3, v19, v3
	v_add_f16_e32 v19, v27, v20
	v_fmamk_f16 v26, v23, 0xbaee, v0
	v_fmac_f16_e32 v0, 0x3aee, v23
	v_fmamk_f16 v23, v24, 0x3aee, v18
	v_fmac_f16_e32 v18, 0xbaee, v24
	v_add_f16_e32 v24, v4, v6
	v_fmac_f16_e32 v1, -0.5, v19
	v_sub_f16_e32 v19, v4, v6
	v_add_f16_e32 v28, v28, v20
	v_sub_f16_e32 v20, v27, v20
	v_add_f16_e32 v27, v22, v25
	v_add_f16_e32 v30, v5, v7
	;; [unrolled: 1-line block ×3, first 2 shown]
	v_fmac_f16_e32 v21, -0.5, v24
	v_fmamk_f16 v24, v19, 0xbaee, v1
	v_fmac_f16_e32 v1, 0x3aee, v19
	v_add_f16_e32 v19, v2, v22
	v_fmac_f16_e32 v2, -0.5, v27
	v_sub_f16_e32 v27, v5, v7
	v_add_f16_e32 v5, v31, v5
	v_fmac_f16_e32 v31, -0.5, v30
	v_sub_f16_e32 v22, v22, v25
	v_add_f16_e32 v17, v17, v36
	v_add_f16_e32 v4, v4, v6
	;; [unrolled: 1-line block ×3, first 2 shown]
	v_pack_b32_f16 v7, v26, v23
	v_fmamk_f16 v6, v20, 0x3aee, v21
	v_fmac_f16_e32 v21, 0xbaee, v20
	v_pack_b32_f16 v0, v0, v18
	v_add_f16_e32 v19, v19, v25
	v_fmamk_f16 v20, v27, 0xbaee, v2
	v_fmamk_f16 v18, v22, 0x3aee, v31
	v_fmac_f16_e32 v2, 0x3aee, v27
	v_fmac_f16_e32 v31, 0xbaee, v22
	v_pack_b32_f16 v3, v17, v3
	ds_write_b32 v40, v7 offset:2112
	ds_write_b32 v40, v0 offset:4224
	v_pack_b32_f16 v0, v28, v4
	v_pack_b32_f16 v1, v1, v21
	;; [unrolled: 1-line block ×6, first 2 shown]
	ds_write2_b32 v40, v3, v0 offset1:176
	ds_write_b32 v40, v1 offset:4928
	ds_write_b32 v40, v5 offset:1408
	ds_write2_b32 v29, v4, v6 offset0:64 offset1:240
	ds_write_b32 v40, v2 offset:5632
	s_waitcnt lgkmcnt(0)
	s_barrier
	buffer_gl0_inv
	ds_read2_b32 v[4:5], v40 offset1:176
	s_waitcnt lgkmcnt(0)
	v_lshrrev_b32_e32 v2, 16, v4
	v_mul_f16_sdwa v3, v49, v4 dst_sel:DWORD dst_unused:UNUSED_PAD src0_sel:WORD_1 src1_sel:DWORD
	v_mul_f16_sdwa v0, v49, v2 dst_sel:DWORD dst_unused:UNUSED_PAD src0_sel:WORD_1 src1_sel:DWORD
	v_fma_f16 v2, v49, v2, -v3
	v_fmac_f16_e32 v0, v49, v4
	v_cvt_f32_f16_e32 v2, v2
	v_cvt_f32_f16_e32 v0, v0
	v_cvt_f64_f32_e32 v[2:3], v2
	v_cvt_f64_f32_e32 v[0:1], v0
	v_mul_f64 v[3:4], v[2:3], s[4:5]
	v_mul_f64 v[6:7], v[0:1], s[4:5]
	v_add_nc_u32_e32 v0, 0x600, v40
	ds_read2_b32 v[1:2], v0 offset0:12 offset1:188
	v_and_or_b32 v3, 0x1ff, v4, v3
	v_lshrrev_b32_e32 v20, 8, v4
	v_bfe_u32 v23, v4, 20, 11
	v_lshrrev_b32_e32 v4, 16, v4
	v_and_or_b32 v6, 0x1ff, v7, v6
	v_bfe_u32 v17, v7, 20, 11
	s_waitcnt lgkmcnt(0)
	v_lshrrev_b32_e32 v21, 16, v1
	v_cmp_ne_u32_e64 s0, 0, v6
	v_lshrrev_b32_e32 v6, 8, v7
	v_add_nc_u32_e32 v24, 0xfffffc10, v17
	v_mul_f16_sdwa v22, v48, v21 dst_sel:DWORD dst_unused:UNUSED_PAD src0_sel:WORD_1 src1_sel:DWORD
	v_cndmask_b32_e64 v0, 0, 1, s0
	v_cmp_ne_u32_e64 s0, 0, v3
	v_cmp_eq_u32_e64 s2, 0x40f, v24
	v_fmac_f16_e32 v22, v48, v1
	v_and_or_b32 v6, 0xffe, v6, v0
	v_sub_nc_u32_e32 v0, 0x3f1, v17
	v_cndmask_b32_e64 v3, 0, 1, s0
	v_mul_f16_sdwa v1, v48, v1 dst_sel:DWORD dst_unused:UNUSED_PAD src0_sel:WORD_1 src1_sel:DWORD
	v_cvt_f32_f16_e32 v17, v22
	v_or_b32_e32 v18, 0x1000, v6
	v_med3_i32 v0, v0, 0, 13
	v_and_or_b32 v3, 0xffe, v20, v3
	v_sub_nc_u32_e32 v20, 0x3f1, v23
	v_lshl_or_b32 v26, v24, 12, v6
	v_fma_f16 v1, v48, v21, -v1
	v_lshrrev_b32_e32 v19, v0, v18
	v_or_b32_e32 v22, 0x1000, v3
	v_med3_i32 v25, v20, 0, 13
	v_cvt_f32_f16_e32 v1, v1
	v_lshlrev_b32_e32 v0, v0, v19
	v_lshrrev_b32_e32 v27, v25, v22
	v_cmp_ne_u32_e64 s0, v0, v18
	v_cvt_f64_f32_e32 v[17:18], v17
	v_lshlrev_b32_e32 v25, v25, v27
	v_cndmask_b32_e64 v0, 0, 1, s0
	v_cmp_gt_i32_e64 s0, 1, v24
	v_or_b32_e32 v0, v19, v0
	v_mad_u64_u32 v[19:20], null, s10, v16, 0
	v_cndmask_b32_e64 v26, v26, v0, s0
	v_cmp_ne_u32_e64 s0, v25, v22
	v_add_nc_u32_e32 v25, 0xfffffc10, v23
	v_mov_b32_e32 v0, v20
	v_and_b32_e32 v28, 7, v26
	v_cndmask_b32_e64 v20, 0, 1, s0
	v_lshrrev_b32_e32 v22, 2, v26
	v_lshl_or_b32 v23, v25, 12, v3
	v_mul_f64 v[17:18], v[17:18], s[4:5]
	v_cmp_lt_i32_e64 s0, 5, v28
	v_cmp_eq_u32_e64 s1, 3, v28
	v_or_b32_e32 v20, v27, v20
	s_or_b32 s0, s1, s0
	v_add_co_ci_u32_e64 v22, s0, 0, v22, s0
	v_cmp_gt_i32_e64 s0, 1, v25
	v_cndmask_b32_e64 v26, v23, v20, s0
	v_cmp_ne_u32_e64 s0, 0, v6
	v_cvt_f64_f32_e32 v[20:21], v1
	v_and_b32_e32 v28, 7, v26
	v_cndmask_b32_e64 v6, 0, 1, s0
	v_cmp_gt_i32_e64 s0, 31, v24
	v_lshrrev_b32_e32 v24, 16, v7
	v_cmp_eq_u32_e64 s1, 3, v28
	v_lshl_or_b32 v6, v6, 9, 0x7c00
	v_cndmask_b32_e64 v27, 0x7c00, v22, s0
	v_cmp_lt_i32_e64 s0, 5, v28
	v_mad_u64_u32 v[22:23], null, s11, v16, v[0:1]
	v_lshrrev_b32_e32 v0, 2, v26
	v_cndmask_b32_e64 v23, v27, v6, s2
	s_or_b32 s0, s1, s0
	v_and_or_b32 v1, 0x1ff, v18, v17
	v_lshrrev_b32_e32 v17, 8, v18
	v_add_co_ci_u32_e64 v6, s0, 0, v0, s0
	v_cmp_ne_u32_e64 s0, 0, v3
	v_add_nc_u32_e32 v0, 0xc00, v40
	v_bfe_u32 v26, v18, 20, 11
	v_and_or_b32 v23, 0x8000, v24, v23
	v_lshrrev_b32_e32 v18, 16, v18
	v_cndmask_b32_e64 v3, 0, 1, s0
	v_cmp_ne_u32_e64 s0, 0, v1
	ds_read2_b32 v[0:1], v0 offset0:24 offset1:200
	v_lshl_or_b32 v3, v3, 9, 0x7c00
	v_cndmask_b32_e64 v16, 0, 1, s0
	v_cmp_gt_i32_e64 s0, 31, v25
	v_and_or_b32 v28, 0xffe, v17, v16
	v_cndmask_b32_e64 v27, 0x7c00, v6, s0
	v_mul_f64 v[6:7], v[20:21], s[4:5]
	v_sub_nc_u32_e32 v20, 0x3f1, v26
	v_mad_u64_u32 v[16:17], null, s8, v46, 0
	v_or_b32_e32 v21, 0x1000, v28
	v_cmp_eq_u32_e64 s0, 0x40f, v25
	v_med3_i32 v29, v20, 0, 13
	v_mov_b32_e32 v20, v22
	v_add_nc_u32_e32 v26, 0xfffffc10, v26
	v_cndmask_b32_e64 v25, v27, v3, s0
	v_lshrrev_b32_e32 v22, v29, v21
	v_mov_b32_e32 v3, v17
	v_lshlrev_b64 v[19:20], 2, v[19:20]
	v_and_or_b32 v24, 0x8000, v4, v25
	v_lshlrev_b32_e32 v17, v29, v22
	s_waitcnt lgkmcnt(0)
	v_lshrrev_b32_e32 v25, 16, v0
	v_mad_u64_u32 v[3:4], null, s9, v46, v[3:4]
	v_and_b32_e32 v4, 0xffff, v23
	v_cmp_ne_u32_e64 s0, v17, v21
	v_and_or_b32 v6, 0x1ff, v7, v6
	v_mul_f16_sdwa v23, v47, v25 dst_sel:DWORD dst_unused:UNUSED_PAD src0_sel:WORD_1 src1_sel:DWORD
	v_lshrrev_b32_e32 v21, 8, v7
	v_bfe_u32 v27, v7, 20, 11
	v_cndmask_b32_e64 v17, 0, 1, s0
	v_cmp_ne_u32_e64 s0, 0, v6
	v_fmac_f16_e32 v23, v47, v0
	v_lshl_or_b32 v29, v26, 12, v28
	v_sub_nc_u32_e32 v30, 0x3f1, v27
	v_or_b32_e32 v17, v22, v17
	v_cndmask_b32_e64 v6, 0, 1, s0
	v_cvt_f32_f16_e32 v23, v23
	v_cmp_gt_i32_e64 s0, 1, v26
	v_med3_i32 v30, v30, 0, 13
	v_lshl_or_b32 v24, v24, 16, v4
	v_and_or_b32 v6, 0xffe, v21, v6
	v_cvt_f64_f32_e32 v[21:22], v23
	v_cndmask_b32_e64 v23, v29, v17, s0
	v_mov_b32_e32 v17, v3
	v_add_co_u32 v31, s0, s6, v19
	v_or_b32_e32 v29, 0x1000, v6
	v_and_b32_e32 v3, 7, v23
	v_add_co_ci_u32_e64 v32, s0, s7, v20, s0
	v_add_nc_u32_e32 v27, 0xfffffc10, v27
	v_lshrrev_b32_e32 v4, v30, v29
	v_cmp_lt_i32_e64 s0, 5, v3
	v_cmp_eq_u32_e64 s1, 3, v3
	v_lshrrev_b32_e32 v3, 2, v23
	v_mul_f16_sdwa v0, v47, v0 dst_sel:DWORD dst_unused:UNUSED_PAD src0_sel:WORD_1 src1_sel:DWORD
	v_lshlrev_b32_e32 v19, v30, v4
	v_lshlrev_b64 v[16:17], 2, v[16:17]
	s_or_b32 s0, s1, s0
	v_fma_f16 v0, v47, v25, -v0
	v_cmp_ne_u32_e64 s2, v19, v29
	v_mul_f64 v[19:20], v[21:22], s[4:5]
	v_add_co_ci_u32_e64 v21, s0, 0, v3, s0
	v_cndmask_b32_e64 v23, 0, 1, s2
	v_cmp_ne_u32_e64 s0, 0, v28
	v_add_nc_u32_e32 v22, 0x1200, v40
	v_cvt_f32_f16_e32 v0, v0
	v_or_b32_e32 v3, v4, v23
	v_lshl_or_b32 v4, v27, 12, v6
	v_cndmask_b32_e64 v23, 0, 1, s0
	v_cmp_gt_i32_e64 s0, 1, v27
	v_lshl_or_b32 v23, v23, 9, 0x7c00
	v_cndmask_b32_e64 v25, v4, v3, s0
	v_cmp_gt_i32_e64 s0, 31, v26
	ds_read2_b32 v[3:4], v22 offset0:36 offset1:212
	v_and_b32_e32 v29, 7, v25
	v_cndmask_b32_e64 v28, 0x7c00, v21, s0
	v_cvt_f64_f32_e32 v[21:22], v0
	v_add_co_u32 v16, s0, v31, v16
	v_and_or_b32 v0, 0x1ff, v20, v19
	v_add_co_ci_u32_e64 v17, s0, v32, v17, s0
	v_cmp_eq_u32_e64 s0, 0x40f, v26
	v_cmp_eq_u32_e64 s1, 3, v29
	v_cmp_ne_u32_e64 s2, 0, v0
	v_bfe_u32 v26, v20, 20, 11
	global_store_dword v[16:17], v24, off
	v_cndmask_b32_e64 v19, v28, v23, s0
	v_cmp_lt_i32_e64 s0, 5, v29
	v_lshrrev_b32_e32 v23, 2, v25
	v_cndmask_b32_e64 v0, 0, 1, s2
	v_lshrrev_b32_e32 v25, 8, v20
	s_waitcnt lgkmcnt(0)
	v_lshrrev_b32_e32 v28, 16, v3
	s_or_b32 s0, s1, s0
	v_and_or_b32 v18, 0x8000, v18, v19
	v_add_co_ci_u32_e64 v23, s0, 0, v23, s0
	v_and_or_b32 v0, 0xffe, v25, v0
	v_mul_f64 v[21:22], v[21:22], s[4:5]
	v_sub_nc_u32_e32 v25, 0x3f1, v26
	v_mul_f16_sdwa v29, v45, v28 dst_sel:DWORD dst_unused:UNUSED_PAD src0_sel:WORD_1 src1_sel:DWORD
	v_cmp_ne_u32_e64 s0, 0, v6
	v_or_b32_e32 v30, 0x1000, v0
	v_and_b32_e32 v18, 0xffff, v18
	v_med3_i32 v25, v25, 0, 13
	v_fmac_f16_e32 v29, v45, v3
	v_cndmask_b32_e64 v6, 0, 1, s0
	v_cmp_gt_i32_e64 s0, 31, v27
	s_mul_i32 s1, s9, 0x18c
	v_lshrrev_b32_e32 v31, v25, v30
	v_cvt_f32_f16_e32 v29, v29
	v_lshl_or_b32 v6, v6, 9, 0x7c00
	v_cndmask_b32_e64 v23, 0x7c00, v23, s0
	v_cmp_eq_u32_e64 s0, 0x40f, v27
	v_lshlrev_b32_e32 v24, v25, v31
	v_lshrrev_b32_e32 v27, 16, v7
	s_mul_hi_u32 s2, s8, 0x18c
	v_mul_f16_sdwa v3, v45, v3 dst_sel:DWORD dst_unused:UNUSED_PAD src0_sel:WORD_1 src1_sel:DWORD
	v_cndmask_b32_e64 v23, v23, v6, s0
	v_cvt_f64_f32_e32 v[6:7], v29
	v_cmp_ne_u32_e64 s0, v24, v30
	v_and_or_b32 v21, 0x1ff, v22, v21
	v_add_nc_u32_e32 v24, 0xfffffc10, v26
	v_and_or_b32 v19, 0x8000, v27, v23
	v_lshrrev_b32_e32 v26, 8, v22
	v_cndmask_b32_e64 v23, 0, 1, s0
	v_cmp_ne_u32_e64 s0, 0, v21
	v_lshl_or_b32 v25, v24, 12, v0
	v_bfe_u32 v27, v22, 20, 11
	v_lshl_or_b32 v29, v19, 16, v18
	v_or_b32_e32 v23, v31, v23
	v_cndmask_b32_e64 v21, 0, 1, s0
	v_cmp_gt_i32_e64 s0, 1, v24
	s_add_i32 s3, s2, s1
	v_fma_f16 v3, v45, v28, -v3
	v_lshrrev_b32_e32 v31, 16, v5
	v_and_or_b32 v21, 0xffe, v26, v21
	v_cndmask_b32_e64 v23, v25, v23, s0
	v_sub_nc_u32_e32 v25, 0x3f1, v27
	v_cvt_f32_f16_e32 v3, v3
	v_lshrrev_b32_e32 v22, 16, v22
	v_mul_f64 v[6:7], v[6:7], s[4:5]
	v_or_b32_e32 v18, 0x1000, v21
	v_med3_i32 v19, v25, 0, 13
	v_and_b32_e32 v26, 7, v23
	v_lshrrev_b32_e32 v23, 2, v23
	s_mul_i32 s2, s8, 0x18c
	v_lshrrev_b32_e32 v25, v19, v18
	v_cmp_lt_i32_e64 s0, 5, v26
	v_cmp_eq_u32_e64 s1, 3, v26
	v_add_nc_u32_e32 v26, 0xfffffc10, v27
	s_lshl_b64 s[16:17], s[2:3], 2
	v_lshlrev_b32_e32 v19, v19, v25
	v_add_co_u32 v16, s2, v16, s16
	s_or_b32 s0, s1, s0
	v_lshl_or_b32 v27, v26, 12, v21
	v_add_co_ci_u32_e64 v23, s0, 0, v23, s0
	v_cmp_ne_u32_e64 s0, v19, v18
	v_add_co_ci_u32_e64 v17, s2, s17, v17, s2
	v_and_or_b32 v6, 0x1ff, v7, v6
	v_lshrrev_b32_e32 v28, 8, v7
	v_cndmask_b32_e64 v18, 0, 1, s0
	v_cmp_ne_u32_e64 s0, 0, v0
	v_bfe_u32 v30, v7, 20, 11
	global_store_dword v[16:17], v29, off
	v_lshrrev_b32_e32 v7, 16, v7
	v_or_b32_e32 v25, v25, v18
	v_cndmask_b32_e64 v0, 0, 1, s0
	v_cmp_ne_u32_e64 s0, 0, v6
	v_cvt_f64_f32_e32 v[18:19], v3
	v_lshl_or_b32 v0, v0, 9, 0x7c00
	v_cndmask_b32_e64 v6, 0, 1, s0
	v_cmp_gt_i32_e64 s0, 1, v26
	v_cndmask_b32_e64 v3, v27, v25, s0
	v_cmp_gt_i32_e64 s0, 31, v24
	v_and_or_b32 v25, 0xffe, v28, v6
	v_sub_nc_u32_e32 v6, 0x3f1, v30
	v_and_b32_e32 v27, 7, v3
	v_cndmask_b32_e64 v23, 0x7c00, v23, s0
	v_cmp_eq_u32_e64 s0, 0x40f, v24
	v_or_b32_e32 v28, 0x1000, v25
	v_med3_i32 v6, v6, 0, 13
	v_cmp_eq_u32_e64 s1, 3, v27
	v_lshrrev_b32_e32 v3, 2, v3
	v_cndmask_b32_e64 v0, v23, v0, s0
	v_cmp_lt_i32_e64 s0, 5, v27
	v_lshrrev_b32_e32 v24, v6, v28
	v_lshrrev_b32_e32 v23, 16, v20
	v_mul_f16_sdwa v20, v44, v31 dst_sel:DWORD dst_unused:UNUSED_PAD src0_sel:WORD_1 src1_sel:DWORD
	v_mul_f64 v[18:19], v[18:19], s[4:5]
	s_or_b32 s0, s1, s0
	v_lshlrev_b32_e32 v6, v6, v24
	v_add_co_ci_u32_e64 v3, s0, 0, v3, s0
	v_cmp_ne_u32_e64 s0, 0, v21
	v_fmac_f16_e32 v20, v44, v5
	v_and_or_b32 v0, 0x8000, v23, v0
	v_mul_f16_sdwa v5, v44, v5 dst_sel:DWORD dst_unused:UNUSED_PAD src0_sel:WORD_1 src1_sel:DWORD
	v_cndmask_b32_e64 v27, 0, 1, s0
	v_cmp_ne_u32_e64 s0, v6, v28
	v_cvt_f32_f16_e32 v20, v20
	v_add_nc_u32_e32 v28, 0xfffffc10, v30
	v_and_b32_e32 v0, 0xffff, v0
	v_lshl_or_b32 v27, v27, 9, 0x7c00
	v_cndmask_b32_e64 v6, 0, 1, s0
	v_cmp_gt_i32_e64 s0, 31, v26
	v_cvt_f64_f32_e32 v[20:21], v20
	v_lshl_or_b32 v23, v28, 12, v25
	v_fma_f16 v5, v44, v31, -v5
	v_or_b32_e32 v6, v24, v6
	v_cndmask_b32_e64 v3, 0x7c00, v3, s0
	v_cmp_eq_u32_e64 s0, 0x40f, v26
	v_and_or_b32 v18, 0x1ff, v19, v18
	v_bfe_u32 v24, v19, 20, 11
	v_cndmask_b32_e64 v3, v3, v27, s0
	v_cmp_gt_i32_e64 s0, 1, v28
	v_cvt_f32_f16_e32 v27, v5
	v_and_or_b32 v3, 0x8000, v22, v3
	v_cndmask_b32_e64 v6, v23, v6, s0
	v_cmp_ne_u32_e64 s0, 0, v18
	v_lshrrev_b32_e32 v23, 8, v19
	v_lshl_or_b32 v0, v3, 16, v0
	v_and_b32_e32 v22, 7, v6
	v_cndmask_b32_e64 v18, 0, 1, s0
	v_mul_f64 v[20:21], v[20:21], s[4:5]
	v_lshrrev_b32_e32 v6, 2, v6
	v_cmp_lt_i32_e64 s0, 5, v22
	v_cmp_eq_u32_e64 s1, 3, v22
	v_and_or_b32 v3, 0xffe, v23, v18
	v_sub_nc_u32_e32 v18, 0x3f1, v24
	v_add_nc_u32_e32 v24, 0xfffffc10, v24
	s_or_b32 s0, s1, s0
	v_or_b32_e32 v22, 0x1000, v3
	v_med3_i32 v18, v18, 0, 13
	v_add_co_ci_u32_e64 v23, s0, 0, v6, s0
	v_add_co_u32 v5, s0, v16, s16
	v_add_co_ci_u32_e64 v6, s0, s17, v17, s0
	v_lshrrev_b32_e32 v26, v18, v22
	v_cmp_gt_i32_e64 s0, 31, v28
	v_cvt_f64_f32_e32 v[16:17], v27
	global_store_dword v[5:6], v0, off
	v_and_or_b32 v20, 0x1ff, v21, v20
	v_lshlrev_b32_e32 v18, v18, v26
	v_cndmask_b32_e64 v23, 0x7c00, v23, s0
	v_cmp_ne_u32_e64 s0, 0, v25
	v_bfe_u32 v27, v21, 20, 11
	v_cndmask_b32_e64 v25, 0, 1, s0
	v_cmp_ne_u32_e64 s0, v18, v22
	v_lshrrev_b32_e32 v22, 8, v21
	v_lshrrev_b32_e32 v21, 16, v21
	v_lshl_or_b32 v25, v25, 9, 0x7c00
	v_cndmask_b32_e64 v18, 0, 1, s0
	v_cmp_ne_u32_e64 s0, 0, v20
	v_or_b32_e32 v18, v26, v18
	v_cndmask_b32_e64 v20, 0, 1, s0
	v_cmp_eq_u32_e64 s0, 0x40f, v28
	v_lshl_or_b32 v26, v24, 12, v3
	v_mul_f64 v[16:17], v[16:17], s[4:5]
	v_and_or_b32 v20, 0xffe, v22, v20
	v_sub_nc_u32_e32 v22, 0x3f1, v27
	v_cndmask_b32_e64 v23, v23, v25, s0
	v_cmp_gt_i32_e64 s0, 1, v24
	v_or_b32_e32 v25, 0x1000, v20
	v_med3_i32 v22, v22, 0, 13
	v_and_or_b32 v7, 0x8000, v7, v23
	v_cndmask_b32_e64 v18, v26, v18, s0
	v_lshrrev_b32_e32 v26, 16, v2
	v_lshrrev_b32_e32 v28, v22, v25
	v_and_b32_e32 v7, 0xffff, v7
	v_and_b32_e32 v29, 7, v18
	v_mul_f16_sdwa v0, v43, v26 dst_sel:DWORD dst_unused:UNUSED_PAD src0_sel:WORD_1 src1_sel:DWORD
	v_lshrrev_b32_e32 v18, 2, v18
	v_lshlrev_b32_e32 v22, v22, v28
	v_cmp_lt_i32_e64 s0, 5, v29
	v_cmp_eq_u32_e64 s1, 3, v29
	v_fmac_f16_e32 v0, v43, v2
	v_cmp_ne_u32_e64 s2, v22, v25
	v_add_nc_u32_e32 v25, 0xfffffc10, v27
	v_and_or_b32 v16, 0x1ff, v17, v16
	s_or_b32 s0, s1, s0
	v_cvt_f32_f16_e32 v0, v0
	v_add_co_ci_u32_e64 v18, s0, 0, v18, s0
	v_cndmask_b32_e64 v22, 0, 1, s2
	v_cmp_ne_u32_e64 s0, 0, v3
	s_mul_hi_u32 s2, s8, 0xfffffc0c
	v_or_b32_e32 v27, v28, v22
	v_lshl_or_b32 v28, v25, 12, v20
	v_cvt_f64_f32_e32 v[22:23], v0
	v_cndmask_b32_e64 v0, 0, 1, s0
	v_cmp_gt_i32_e64 s0, 1, v25
	v_lshl_or_b32 v0, v0, 9, 0x7c00
	v_cndmask_b32_e64 v3, v28, v27, s0
	v_cmp_ne_u32_e64 s0, 0, v16
	v_lshrrev_b32_e32 v27, 8, v17
	v_bfe_u32 v28, v17, 20, 11
	v_and_b32_e32 v29, 7, v3
	v_cndmask_b32_e64 v16, 0, 1, s0
	v_cmp_gt_i32_e64 s0, 31, v24
	v_lshrrev_b32_e32 v3, 2, v3
	v_cmp_eq_u32_e64 s1, 3, v29
	v_and_or_b32 v16, 0xffe, v27, v16
	v_sub_nc_u32_e32 v27, 0x3f1, v28
	v_cndmask_b32_e64 v18, 0x7c00, v18, s0
	v_cmp_eq_u32_e64 s0, 0x40f, v24
	v_lshrrev_b32_e32 v24, 16, v19
	v_or_b32_e32 v30, 0x1000, v16
	v_med3_i32 v27, v27, 0, 13
	v_cndmask_b32_e64 v0, v18, v0, s0
	v_cmp_lt_i32_e64 s0, 5, v29
	v_mul_f64 v[18:19], v[22:23], s[4:5]
	v_lshrrev_b32_e32 v22, v27, v30
	v_and_or_b32 v0, 0x8000, v24, v0
	s_or_b32 s0, s1, s0
	v_add_co_ci_u32_e64 v3, s0, 0, v3, s0
	v_lshlrev_b32_e32 v23, v27, v22
	v_cmp_gt_i32_e64 s0, 31, v25
	v_lshl_or_b32 v7, v0, 16, v7
	v_mul_f16_sdwa v0, v43, v2 dst_sel:DWORD dst_unused:UNUSED_PAD src0_sel:WORD_1 src1_sel:DWORD
	v_cndmask_b32_e64 v24, 0x7c00, v3, s0
	v_cmp_ne_u32_e64 s0, v23, v30
	v_add_nc_u32_e32 v23, 0xfffffc10, v28
	v_fma_f16 v0, v43, v26, -v0
	v_cndmask_b32_e64 v2, 0, 1, s0
	v_cmp_ne_u32_e64 s0, 0, v20
	v_lshl_or_b32 v20, v23, 12, v16
	v_cvt_f32_f16_e32 v0, v0
	v_and_or_b32 v18, 0x1ff, v19, v18
	v_or_b32_e32 v2, v22, v2
	v_cndmask_b32_e64 v3, 0, 1, s0
	v_cmp_gt_i32_e64 s0, 1, v23
	v_bfe_u32 v26, v19, 20, 11
	v_lshl_or_b32 v22, v3, 9, 0x7c00
	v_cndmask_b32_e64 v20, v20, v2, s0
	v_cvt_f64_f32_e32 v[2:3], v0
	v_cmp_ne_u32_e64 s0, 0, v18
	v_lshrrev_b32_e32 v18, 8, v19
	v_and_b32_e32 v27, 7, v20
	v_lshrrev_b32_e32 v20, 2, v20
	v_cndmask_b32_e64 v0, 0, 1, s0
	v_cmp_eq_u32_e64 s0, 0x40f, v25
	v_lshrrev_b32_e32 v25, 16, v1
	v_cmp_eq_u32_e64 s1, 3, v27
	v_and_or_b32 v0, 0xffe, v18, v0
	v_cndmask_b32_e64 v22, v24, v22, s0
	v_cmp_lt_i32_e64 s0, 5, v27
	v_sub_nc_u32_e32 v18, 0x3f1, v26
	v_mul_f16_sdwa v28, v42, v25 dst_sel:DWORD dst_unused:UNUSED_PAD src0_sel:WORD_1 src1_sel:DWORD
	v_or_b32_e32 v24, 0x1000, v0
	v_and_or_b32 v21, 0x8000, v21, v22
	s_or_b32 s0, s1, s0
	v_med3_i32 v18, v18, 0, 13
	v_add_co_ci_u32_e64 v20, s0, 0, v20, s0
	v_cmp_ne_u32_e64 s0, 0, v16
	v_mul_f64 v[2:3], v[2:3], s[4:5]
	v_lshrrev_b32_e32 v27, v18, v24
	v_fmac_f16_e32 v28, v42, v1
	s_mul_i32 s1, s9, 0xfffffc0c
	v_cndmask_b32_e64 v16, 0, 1, s0
	v_cmp_gt_i32_e64 s0, 31, v23
	v_lshlrev_b32_e32 v18, v18, v27
	v_and_b32_e32 v21, 0xffff, v21
	v_mul_f16_sdwa v1, v42, v1 dst_sel:DWORD dst_unused:UNUSED_PAD src0_sel:WORD_1 src1_sel:DWORD
	v_lshl_or_b32 v16, v16, 9, 0x7c00
	v_cndmask_b32_e64 v20, 0x7c00, v20, s0
	v_cmp_eq_u32_e64 s0, 0x40f, v23
	v_lshrrev_b32_e32 v23, 16, v17
	v_fma_f16 v1, v42, v25, -v1
	v_lshrrev_b32_e32 v25, 16, v4
	v_cndmask_b32_e64 v20, v20, v16, s0
	v_cmp_ne_u32_e64 s0, v18, v24
	v_cvt_f32_f16_e32 v16, v28
	v_add_nc_u32_e32 v24, 0xfffffc10, v26
	v_mul_f16_sdwa v30, v41, v25 dst_sel:DWORD dst_unused:UNUSED_PAD src0_sel:WORD_1 src1_sel:DWORD
	v_and_or_b32 v20, 0x8000, v23, v20
	v_cndmask_b32_e64 v18, 0, 1, s0
	v_cvt_f64_f32_e32 v[16:17], v16
	v_add_co_u32 v5, s0, v5, s16
	v_add_co_ci_u32_e64 v6, s0, s17, v6, s0
	v_or_b32_e32 v18, v27, v18
	v_lshl_or_b32 v22, v24, 12, v0
	v_and_or_b32 v2, 0x1ff, v3, v2
	v_cmp_gt_i32_e64 s0, 1, v24
	v_bfe_u32 v23, v3, 20, 11
	v_fmac_f16_e32 v30, v41, v4
	v_mul_f16_sdwa v4, v41, v4 dst_sel:DWORD dst_unused:UNUSED_PAD src0_sel:WORD_1 src1_sel:DWORD
	v_cndmask_b32_e64 v18, v22, v18, s0
	v_cmp_ne_u32_e64 s0, 0, v2
	v_lshrrev_b32_e32 v22, 8, v3
	v_fma_f16 v4, v41, v25, -v4
	v_and_b32_e32 v26, 7, v18
	v_cndmask_b32_e64 v2, 0, 1, s0
	s_sub_i32 s0, s2, s8
	v_lshrrev_b32_e32 v18, 2, v18
	s_add_i32 s3, s0, s1
	v_cmp_lt_i32_e64 s0, 5, v26
	v_and_or_b32 v2, 0xffe, v22, v2
	v_sub_nc_u32_e32 v22, 0x3f1, v23
	v_cmp_eq_u32_e64 s1, 3, v26
	v_mul_f64 v[16:17], v[16:17], s[4:5]
	v_lshl_or_b32 v26, v20, 16, v21
	v_or_b32_e32 v27, 0x1000, v2
	v_med3_i32 v22, v22, 0, 13
	s_or_b32 s0, s1, s0
	s_mul_i32 s2, s8, 0xfffffc0c
	v_add_co_ci_u32_e64 v18, s0, 0, v18, s0
	v_lshrrev_b32_e32 v20, v22, v27
	v_cmp_ne_u32_e64 s0, 0, v0
	s_lshl_b64 s[6:7], s[2:3], 2
	v_cvt_f32_f16_e32 v4, v4
	v_lshlrev_b32_e32 v21, v22, v20
	v_cndmask_b32_e64 v0, 0, 1, s0
	v_cmp_gt_i32_e64 s0, 31, v24
	v_add_nc_u32_e32 v22, 0xfffffc10, v23
	v_lshl_or_b32 v0, v0, 9, 0x7c00
	v_cndmask_b32_e64 v18, 0x7c00, v18, s0
	v_cmp_ne_u32_e64 s0, v21, v27
	v_and_or_b32 v16, 0x1ff, v17, v16
	v_cndmask_b32_e64 v21, 0, 1, s0
	v_cmp_eq_u32_e64 s0, 0x40f, v24
	v_bfe_u32 v24, v17, 20, 11
	v_cndmask_b32_e64 v23, v18, v0, s0
	v_cmp_ne_u32_e64 s0, 0, v16
	v_cvt_f32_f16_e32 v0, v1
	v_or_b32_e32 v18, v20, v21
	v_lshl_or_b32 v20, v22, 12, v2
	v_lshrrev_b32_e32 v21, 8, v17
	v_cndmask_b32_e64 v16, 0, 1, s0
	v_cmp_gt_i32_e64 s0, 1, v22
	v_cvt_f64_f32_e32 v[0:1], v0
	v_lshrrev_b32_e32 v17, 16, v17
	v_and_or_b32 v16, 0xffe, v21, v16
	v_cndmask_b32_e64 v20, v20, v18, s0
	v_sub_nc_u32_e32 v18, 0x3f1, v24
	v_lshrrev_b32_e32 v21, 16, v19
	v_add_nc_u32_e32 v24, 0xfffffc10, v24
	v_or_b32_e32 v28, 0x1000, v16
	v_and_b32_e32 v27, 7, v20
	v_med3_i32 v29, v18, 0, 13
	v_add_co_u32 v18, s0, v5, s6
	v_add_co_ci_u32_e64 v19, s0, s7, v6, s0
	v_lshrrev_b32_e32 v31, v29, v28
	v_cmp_lt_i32_e64 s0, 5, v27
	v_cmp_eq_u32_e64 s1, 3, v27
	v_lshrrev_b32_e32 v20, 2, v20
	v_and_or_b32 v23, 0x8000, v21, v23
	v_lshlrev_b32_e32 v27, v29, v31
	v_cvt_f32_f16_e32 v21, v30
	s_or_b32 s0, s1, s0
	v_mul_f64 v[0:1], v[0:1], s[4:5]
	v_add_co_ci_u32_e64 v29, s0, 0, v20, s0
	v_cmp_ne_u32_e64 s0, v27, v28
	v_cvt_f64_f32_e32 v[20:21], v21
	v_lshl_or_b32 v28, v24, 12, v16
	v_and_b32_e32 v23, 0xffff, v23
	v_cndmask_b32_e64 v27, 0, 1, s0
	v_cmp_ne_u32_e64 s0, 0, v2
	v_or_b32_e32 v27, v31, v27
	v_cndmask_b32_e64 v2, 0, 1, s0
	v_cmp_gt_i32_e64 s0, 31, v22
	v_lshl_or_b32 v2, v2, 9, 0x7c00
	v_cndmask_b32_e64 v25, 0x7c00, v29, s0
	v_cmp_gt_i32_e64 s0, 1, v24
	v_and_or_b32 v0, 0x1ff, v1, v0
	v_bfe_u32 v29, v1, 20, 11
	v_cndmask_b32_e64 v27, v28, v27, s0
	v_cmp_eq_u32_e64 s0, 0x40f, v22
	v_mul_f64 v[20:21], v[20:21], s[4:5]
	v_lshrrev_b32_e32 v28, 8, v1
	v_lshrrev_b32_e32 v1, 16, v1
	v_cndmask_b32_e64 v22, v25, v2, s0
	v_lshrrev_b32_e32 v25, 16, v3
	v_cvt_f64_f32_e32 v[2:3], v4
	v_cmp_ne_u32_e64 s0, 0, v0
	v_and_b32_e32 v4, 7, v27
	v_and_or_b32 v22, 0x8000, v25, v22
	v_sub_nc_u32_e32 v25, 0x3f1, v29
	v_cndmask_b32_e64 v0, 0, 1, s0
	v_cmp_lt_i32_e64 s0, 5, v4
	v_cmp_eq_u32_e64 s1, 3, v4
	v_lshl_or_b32 v4, v22, 16, v23
	v_lshrrev_b32_e32 v22, 2, v27
	v_and_or_b32 v0, 0xffe, v28, v0
	v_med3_i32 v25, v25, 0, 13
	s_or_b32 s0, s1, s0
	v_add_co_ci_u32_e64 v22, s0, 0, v22, s0
	v_or_b32_e32 v23, 0x1000, v0
	v_cmp_ne_u32_e64 s0, 0, v16
	v_and_or_b32 v20, 0x1ff, v21, v20
	v_lshrrev_b32_e32 v28, 8, v21
	v_bfe_u32 v30, v21, 20, 11
	v_lshrrev_b32_e32 v27, v25, v23
	v_cndmask_b32_e64 v16, 0, 1, s0
	v_cmp_gt_i32_e64 s0, 31, v24
	v_mul_f64 v[2:3], v[2:3], s[4:5]
	v_lshrrev_b32_e32 v21, 16, v21
	v_lshlrev_b32_e32 v25, v25, v27
	v_lshl_or_b32 v16, v16, 9, 0x7c00
	v_cndmask_b32_e64 v22, 0x7c00, v22, s0
	v_cmp_ne_u32_e64 s0, 0, v20
	v_cndmask_b32_e64 v20, 0, 1, s0
	v_cmp_ne_u32_e64 s0, v25, v23
	v_add_nc_u32_e32 v25, 0xfffffc10, v29
	v_and_or_b32 v20, 0xffe, v28, v20
	v_cndmask_b32_e64 v23, 0, 1, s0
	v_sub_nc_u32_e32 v28, 0x3f1, v30
	v_cmp_eq_u32_e64 s0, 0x40f, v24
	v_or_b32_e32 v24, 0x1000, v20
	v_and_or_b32 v2, 0x1ff, v3, v2
	v_cndmask_b32_e64 v16, v22, v16, s0
	v_or_b32_e32 v22, v27, v23
	v_lshl_or_b32 v23, v25, 12, v0
	v_med3_i32 v27, v28, 0, 13
	v_cmp_gt_i32_e64 s0, 1, v25
	v_lshrrev_b32_e32 v28, 8, v3
	v_bfe_u32 v29, v3, 20, 11
	v_and_or_b32 v16, 0x8000, v17, v16
	v_cndmask_b32_e64 v22, v23, v22, s0
	v_lshrrev_b32_e32 v23, v27, v24
	v_cmp_ne_u32_e64 s0, 0, v2
	v_sub_nc_u32_e32 v17, 0x3f1, v29
	v_and_b32_e32 v31, 7, v22
	v_lshlrev_b32_e32 v27, v27, v23
	v_cndmask_b32_e64 v2, 0, 1, s0
	v_lshrrev_b32_e32 v22, 2, v22
	v_med3_i32 v17, v17, 0, 13
	v_cmp_lt_i32_e64 s0, 5, v31
	v_cmp_ne_u32_e64 s1, v27, v24
	v_and_or_b32 v2, 0xffe, v28, v2
	v_add_nc_u32_e32 v28, 0xfffffc10, v30
	v_cndmask_b32_e64 v24, 0, 1, s1
	v_cmp_eq_u32_e64 s1, 3, v31
	v_or_b32_e32 v27, 0x1000, v2
	v_lshl_or_b32 v30, v28, 12, v20
	v_or_b32_e32 v23, v23, v24
	s_or_b32 s0, s1, s0
	v_lshrrev_b32_e32 v24, v17, v27
	v_add_co_ci_u32_e64 v22, s0, 0, v22, s0
	v_cmp_gt_i32_e64 s0, 1, v28
	v_lshlrev_b32_e32 v17, v17, v24
	v_cndmask_b32_e64 v23, v30, v23, s0
	v_cmp_ne_u32_e64 s0, 0, v0
	v_cndmask_b32_e64 v0, 0, 1, s0
	v_cmp_ne_u32_e64 s0, v17, v27
	v_add_nc_u32_e32 v27, 0xfffffc10, v29
	v_and_b32_e32 v29, 7, v23
	v_lshl_or_b32 v0, v0, 9, 0x7c00
	v_cndmask_b32_e64 v17, 0, 1, s0
	v_cmp_gt_i32_e64 s0, 31, v25
	v_cmp_gt_i32_e64 s2, 1, v27
	v_cmp_eq_u32_e64 s1, 3, v29
	v_or_b32_e32 v17, v24, v17
	v_lshl_or_b32 v24, v27, 12, v2
	v_cndmask_b32_e64 v22, 0x7c00, v22, s0
	v_cmp_lt_i32_e64 s0, 5, v29
	v_cndmask_b32_e64 v17, v24, v17, s2
	v_cmp_eq_u32_e64 s2, 0x40f, v25
	s_or_b32 s0, s1, s0
	v_cndmask_b32_e64 v0, v22, v0, s2
	v_lshrrev_b32_e32 v22, 2, v23
	v_and_b32_e32 v23, 7, v17
	v_lshrrev_b32_e32 v17, 2, v17
	v_cmp_gt_i32_e64 s2, 31, v28
	v_and_or_b32 v0, 0x8000, v1, v0
	v_add_co_ci_u32_e64 v22, s0, 0, v22, s0
	v_cmp_ne_u32_e64 s0, 0, v20
	v_cmp_eq_u32_e64 s1, 3, v23
	v_and_b32_e32 v1, 0xffff, v16
	v_cndmask_b32_e64 v22, 0x7c00, v22, s2
	v_cndmask_b32_e64 v20, 0, 1, s0
	v_cmp_lt_i32_e64 s0, 5, v23
	v_lshl_or_b32 v20, v20, 9, 0x7c00
	s_or_b32 s0, s1, s0
	v_add_co_ci_u32_e64 v17, s0, 0, v17, s0
	v_cmp_ne_u32_e64 s0, 0, v2
	v_cndmask_b32_e64 v2, 0, 1, s0
	v_cmp_eq_u32_e64 s0, 0x40f, v28
	v_lshl_or_b32 v2, v2, 9, 0x7c00
	v_cndmask_b32_e64 v20, v22, v20, s0
	v_cmp_gt_i32_e64 s0, 31, v27
	v_and_or_b32 v16, 0x8000, v21, v20
	v_cndmask_b32_e64 v17, 0x7c00, v17, s0
	v_cmp_eq_u32_e64 s0, 0x40f, v27
	v_lshrrev_b32_e32 v20, 16, v3
	v_lshl_or_b32 v21, v0, 16, v1
	v_and_b32_e32 v1, 0xffff, v16
	v_cndmask_b32_e64 v17, v17, v2, s0
	v_add_co_u32 v2, s0, v18, s16
	v_add_co_ci_u32_e64 v3, s0, s17, v19, s0
	v_and_or_b32 v0, 0x8000, v20, v17
	v_add_co_u32 v16, s0, v2, s16
	v_add_co_ci_u32_e64 v17, s0, s17, v3, s0
	v_lshl_or_b32 v20, v0, 16, v1
	v_add_co_u32 v0, s0, v16, s16
	v_add_co_ci_u32_e64 v1, s0, s17, v17, s0
	global_store_dword v[5:6], v7, off
	global_store_dword v[18:19], v26, off
	;; [unrolled: 1-line block ×5, first 2 shown]
	s_and_b32 exec_lo, exec_lo, vcc_lo
	s_cbranch_execz .LBB0_39
; %bb.38:
	s_clause 0x3
	global_load_dword v2, v[14:15], off offset:1408
	global_load_dword v3, v[12:13], off offset:944
	;; [unrolled: 1-line block ×4, first 2 shown]
	ds_read_b32 v4, v40 offset:1408
	ds_read_b32 v5, v40 offset:2992
	;; [unrolled: 1-line block ×4, first 2 shown]
	v_add_co_u32 v0, vcc_lo, v0, s6
	v_add_co_ci_u32_e32 v1, vcc_lo, s7, v1, vcc_lo
	v_add_co_u32 v18, vcc_lo, v0, s16
	v_add_co_ci_u32_e32 v19, vcc_lo, s17, v1, vcc_lo
	;; [unrolled: 2-line block ×3, first 2 shown]
	s_waitcnt lgkmcnt(3)
	v_lshrrev_b32_e32 v8, 16, v4
	s_waitcnt lgkmcnt(2)
	v_lshrrev_b32_e32 v9, 16, v5
	;; [unrolled: 2-line block ×4, first 2 shown]
	s_waitcnt vmcnt(3)
	v_mul_f16_sdwa v12, v8, v2 dst_sel:DWORD dst_unused:UNUSED_PAD src0_sel:DWORD src1_sel:WORD_1
	v_mul_f16_sdwa v15, v4, v2 dst_sel:DWORD dst_unused:UNUSED_PAD src0_sel:DWORD src1_sel:WORD_1
	s_waitcnt vmcnt(2)
	v_mul_f16_sdwa v16, v9, v3 dst_sel:DWORD dst_unused:UNUSED_PAD src0_sel:DWORD src1_sel:WORD_1
	s_waitcnt vmcnt(1)
	v_mul_f16_sdwa v17, v13, v6 dst_sel:DWORD dst_unused:UNUSED_PAD src0_sel:DWORD src1_sel:WORD_1
	v_fmac_f16_e32 v12, v4, v2
	v_mul_f16_sdwa v4, v5, v3 dst_sel:DWORD dst_unused:UNUSED_PAD src0_sel:DWORD src1_sel:WORD_1
	v_fma_f16 v2, v2, v8, -v15
	v_fmac_f16_e32 v16, v5, v3
	v_mul_f16_sdwa v8, v7, v6 dst_sel:DWORD dst_unused:UNUSED_PAD src0_sel:DWORD src1_sel:WORD_1
	v_cvt_f32_f16_e32 v12, v12
	v_fma_f16 v9, v3, v9, -v4
	v_cvt_f32_f16_e32 v5, v2
	v_fmac_f16_e32 v17, v7, v6
	v_cvt_f32_f16_e32 v7, v16
	v_cvt_f64_f32_e32 v[2:3], v12
	v_cvt_f32_f16_e32 v9, v9
	v_cvt_f64_f32_e32 v[4:5], v5
	v_fma_f16 v13, v6, v13, -v8
	v_cvt_f64_f32_e32 v[6:7], v7
	s_waitcnt vmcnt(0)
	v_mul_f16_sdwa v15, v14, v10 dst_sel:DWORD dst_unused:UNUSED_PAD src0_sel:DWORD src1_sel:WORD_1
	v_mul_f16_sdwa v12, v11, v10 dst_sel:DWORD dst_unused:UNUSED_PAD src0_sel:DWORD src1_sel:WORD_1
	v_cvt_f32_f16_e32 v16, v17
	v_cvt_f64_f32_e32 v[8:9], v9
	v_cvt_f32_f16_e32 v13, v13
	v_fmac_f16_e32 v15, v11, v10
	v_fma_f16 v12, v10, v14, -v12
	v_cvt_f64_f32_e32 v[10:11], v16
	v_cvt_f32_f16_e32 v14, v15
	v_cvt_f32_f16_e32 v16, v12
	v_cvt_f64_f32_e32 v[12:13], v13
	v_cvt_f64_f32_e32 v[14:15], v14
	;; [unrolled: 1-line block ×3, first 2 shown]
	v_mul_f64 v[2:3], v[2:3], s[4:5]
	v_mul_f64 v[4:5], v[4:5], s[4:5]
	;; [unrolled: 1-line block ×8, first 2 shown]
	v_and_or_b32 v2, 0x1ff, v3, v2
	v_lshrrev_b32_e32 v22, 8, v3
	v_and_or_b32 v4, 0x1ff, v5, v4
	v_bfe_u32 v23, v3, 20, 11
	v_and_or_b32 v6, 0x1ff, v7, v6
	v_cmp_ne_u32_e32 vcc_lo, 0, v2
	v_lshrrev_b32_e32 v24, 8, v5
	v_bfe_u32 v25, v5, 20, 11
	v_and_or_b32 v8, 0x1ff, v9, v8
	v_lshrrev_b32_e32 v26, 8, v7
	v_cndmask_b32_e64 v2, 0, 1, vcc_lo
	v_cmp_ne_u32_e32 vcc_lo, 0, v4
	v_and_or_b32 v10, 0x1ff, v11, v10
	v_bfe_u32 v27, v7, 20, 11
	v_bfe_u32 v29, v9, 20, 11
	v_and_or_b32 v2, 0xffe, v22, v2
	v_cndmask_b32_e64 v4, 0, 1, vcc_lo
	v_cmp_ne_u32_e32 vcc_lo, 0, v6
	v_and_or_b32 v12, 0x1ff, v13, v12
	v_sub_nc_u32_e32 v38, 0x3f1, v23
	v_and_or_b32 v14, 0x1ff, v15, v14
	v_and_or_b32 v16, 0x1ff, v17, v16
	v_cndmask_b32_e64 v6, 0, 1, vcc_lo
	v_cmp_ne_u32_e32 vcc_lo, 0, v8
	v_add_nc_u32_e32 v23, 0xfffffc10, v23
	v_sub_nc_u32_e32 v39, 0x3f1, v25
	v_and_or_b32 v4, 0xffe, v24, v4
	v_lshrrev_b32_e32 v28, 8, v9
	v_cndmask_b32_e64 v8, 0, 1, vcc_lo
	v_cmp_ne_u32_e32 vcc_lo, 0, v10
	v_bfe_u32 v31, v11, 20, 11
	v_bfe_u32 v33, v13, 20, 11
	v_add_nc_u32_e32 v25, 0xfffffc10, v25
	v_sub_nc_u32_e32 v40, 0x3f1, v27
	v_cndmask_b32_e64 v10, 0, 1, vcc_lo
	v_cmp_ne_u32_e32 vcc_lo, 0, v12
	v_sub_nc_u32_e32 v41, 0x3f1, v29
	v_med3_i32 v22, v38, 0, 13
	v_med3_i32 v24, v39, 0, 13
	v_and_or_b32 v6, 0xffe, v26, v6
	v_cndmask_b32_e64 v12, 0, 1, vcc_lo
	v_cmp_ne_u32_e32 vcc_lo, 0, v14
	v_or_b32_e32 v38, 0x1000, v2
	v_lshl_or_b32 v39, v23, 12, v2
	v_lshrrev_b32_e32 v30, 8, v11
	v_lshrrev_b32_e32 v32, 8, v13
	v_cndmask_b32_e64 v14, 0, 1, vcc_lo
	v_cmp_ne_u32_e32 vcc_lo, 0, v16
	v_bfe_u32 v35, v15, 20, 11
	v_bfe_u32 v37, v17, 20, 11
	v_add_nc_u32_e32 v27, 0xfffffc10, v27
	v_sub_nc_u32_e32 v42, 0x3f1, v31
	v_cndmask_b32_e64 v16, 0, 1, vcc_lo
	v_cmp_ne_u32_e32 vcc_lo, 0, v2
	v_sub_nc_u32_e32 v43, 0x3f1, v33
	v_med3_i32 v26, v40, 0, 13
	v_and_or_b32 v8, 0xffe, v28, v8
	v_med3_i32 v28, v41, 0, 13
	v_cndmask_b32_e64 v2, 0, 1, vcc_lo
	v_cmp_ne_u32_e32 vcc_lo, 0, v4
	v_or_b32_e32 v40, 0x1000, v4
	v_lshl_or_b32 v41, v25, 12, v4
	v_lshrrev_b32_e32 v34, 8, v15
	v_lshrrev_b32_e32 v36, 8, v17
	v_cndmask_b32_e64 v4, 0, 1, vcc_lo
	v_cmp_ne_u32_e32 vcc_lo, 0, v6
	v_add_nc_u32_e32 v29, 0xfffffc10, v29
	v_sub_nc_u32_e32 v44, 0x3f1, v35
	v_sub_nc_u32_e32 v45, 0x3f1, v37
	v_and_or_b32 v10, 0xffe, v30, v10
	v_med3_i32 v30, v42, 0, 13
	v_and_or_b32 v12, 0xffe, v32, v12
	v_med3_i32 v32, v43, 0, 13
	v_or_b32_e32 v42, 0x1000, v6
	v_lshl_or_b32 v43, v27, 12, v6
	v_cndmask_b32_e64 v6, 0, 1, vcc_lo
	v_cmp_ne_u32_e32 vcc_lo, 0, v8
	v_add_nc_u32_e32 v31, 0xfffffc10, v31
	v_and_or_b32 v14, 0xffe, v34, v14
	v_med3_i32 v34, v44, 0, 13
	v_and_or_b32 v16, 0xffe, v36, v16
	v_med3_i32 v36, v45, 0, 13
	v_or_b32_e32 v44, 0x1000, v8
	v_lshl_or_b32 v45, v29, 12, v8
	v_cndmask_b32_e64 v8, 0, 1, vcc_lo
	v_cmp_ne_u32_e32 vcc_lo, 0, v10
	v_add_nc_u32_e32 v33, 0xfffffc10, v33
	v_or_b32_e32 v46, 0x1000, v10
	v_lshl_or_b32 v47, v31, 12, v10
	v_add_nc_u32_e32 v35, 0xfffffc10, v35
	v_cndmask_b32_e64 v10, 0, 1, vcc_lo
	v_cmp_ne_u32_e32 vcc_lo, 0, v12
	v_or_b32_e32 v48, 0x1000, v12
	v_lshl_or_b32 v49, v33, 12, v12
	v_lshrrev_b32_e32 v54, v22, v38
	v_add_nc_u32_e32 v37, 0xfffffc10, v37
	v_cndmask_b32_e64 v12, 0, 1, vcc_lo
	v_cmp_ne_u32_e32 vcc_lo, 0, v14
	v_or_b32_e32 v50, 0x1000, v14
	v_lshl_or_b32 v51, v35, 12, v14
	v_lshrrev_b32_e32 v55, v24, v40
	v_lshlrev_b32_e32 v22, v22, v54
	v_cndmask_b32_e64 v14, 0, 1, vcc_lo
	v_cmp_ne_u32_e32 vcc_lo, 0, v16
	v_or_b32_e32 v52, 0x1000, v16
	v_lshl_or_b32 v53, v37, 12, v16
	v_lshrrev_b32_e32 v56, v26, v42
	v_lshlrev_b32_e32 v24, v24, v55
	v_cndmask_b32_e64 v16, 0, 1, vcc_lo
	v_cmp_ne_u32_e32 vcc_lo, v22, v38
	v_lshrrev_b32_e32 v57, v28, v44
	v_lshlrev_b32_e32 v26, v26, v56
	v_lshrrev_b32_e32 v58, v30, v46
	v_lshrrev_b32_e32 v59, v32, v48
	v_cndmask_b32_e64 v22, 0, 1, vcc_lo
	v_cmp_ne_u32_e32 vcc_lo, v24, v40
	v_lshlrev_b32_e32 v28, v28, v57
	v_lshlrev_b32_e32 v30, v30, v58
	v_lshrrev_b32_e32 v60, v34, v50
	v_lshlrev_b32_e32 v32, v32, v59
	v_cndmask_b32_e64 v24, 0, 1, vcc_lo
	v_cmp_ne_u32_e32 vcc_lo, v26, v42
	v_lshrrev_b32_e32 v61, v36, v52
	v_lshlrev_b32_e32 v34, v34, v60
	v_or_b32_e32 v22, v54, v22
	v_or_b32_e32 v24, v55, v24
	v_cndmask_b32_e64 v26, 0, 1, vcc_lo
	v_cmp_ne_u32_e32 vcc_lo, v28, v44
	v_lshlrev_b32_e32 v36, v36, v61
	v_lshl_or_b32 v2, v2, 9, 0x7c00
	v_lshl_or_b32 v4, v4, 9, 0x7c00
	v_or_b32_e32 v26, v56, v26
	v_cndmask_b32_e64 v28, 0, 1, vcc_lo
	v_cmp_ne_u32_e32 vcc_lo, v30, v46
	v_lshl_or_b32 v6, v6, 9, 0x7c00
	v_lshl_or_b32 v8, v8, 9, 0x7c00
	;; [unrolled: 1-line block ×3, first 2 shown]
	v_or_b32_e32 v28, v57, v28
	v_cndmask_b32_e64 v30, 0, 1, vcc_lo
	v_cmp_ne_u32_e32 vcc_lo, v32, v48
	v_lshl_or_b32 v12, v12, 9, 0x7c00
	v_lshl_or_b32 v14, v14, 9, 0x7c00
	v_lshrrev_b32_e32 v3, 16, v3
	v_or_b32_e32 v30, v58, v30
	v_cndmask_b32_e64 v32, 0, 1, vcc_lo
	v_cmp_ne_u32_e32 vcc_lo, v34, v50
	v_lshrrev_b32_e32 v7, 16, v7
	v_lshrrev_b32_e32 v11, 16, v11
	;; [unrolled: 1-line block ×3, first 2 shown]
	v_or_b32_e32 v32, v59, v32
	v_cndmask_b32_e64 v34, 0, 1, vcc_lo
	v_cmp_ne_u32_e32 vcc_lo, v36, v52
	v_lshrrev_b32_e32 v9, 16, v9
	v_lshrrev_b32_e32 v15, 16, v15
	v_lshl_or_b32 v16, v16, 9, 0x7c00
	v_or_b32_e32 v34, v60, v34
	v_cndmask_b32_e64 v36, 0, 1, vcc_lo
	v_cmp_gt_i32_e32 vcc_lo, 1, v23
	v_lshrrev_b32_e32 v13, 16, v13
	v_lshrrev_b32_e32 v17, 16, v17
	v_or_b32_e32 v36, v61, v36
	v_cndmask_b32_e32 v22, v39, v22, vcc_lo
	v_cmp_gt_i32_e32 vcc_lo, 1, v25
	v_and_b32_e32 v38, 7, v22
	v_cndmask_b32_e32 v24, v41, v24, vcc_lo
	v_cmp_gt_i32_e32 vcc_lo, 1, v27
	v_lshrrev_b32_e32 v22, 2, v22
	v_cmp_eq_u32_e64 s0, 3, v38
	v_and_b32_e32 v39, 7, v24
	v_cndmask_b32_e32 v26, v43, v26, vcc_lo
	v_cmp_gt_i32_e32 vcc_lo, 1, v29
	v_lshrrev_b32_e32 v24, 2, v24
	v_cmp_lt_i32_e64 s1, 5, v39
	v_and_b32_e32 v40, 7, v26
	v_cndmask_b32_e32 v28, v45, v28, vcc_lo
	v_cmp_gt_i32_e32 vcc_lo, 1, v31
	v_cmp_eq_u32_e64 s2, 3, v39
	v_lshrrev_b32_e32 v26, 2, v26
	v_cmp_lt_i32_e64 s3, 5, v40
	v_and_b32_e32 v41, 7, v28
	v_cndmask_b32_e32 v30, v47, v30, vcc_lo
	v_cmp_gt_i32_e32 vcc_lo, 1, v33
	v_cmp_eq_u32_e64 s4, 3, v40
	;; [unrolled: 6-line block ×4, first 2 shown]
	v_lshrrev_b32_e32 v32, 2, v32
	v_cmp_lt_i32_e64 s9, 5, v43
	v_and_b32_e32 v44, 7, v34
	v_cndmask_b32_e32 v36, v53, v36, vcc_lo
	v_cmp_lt_i32_e32 vcc_lo, 5, v38
	v_cmp_eq_u32_e64 s10, 3, v43
	v_lshrrev_b32_e32 v34, 2, v34
	v_cmp_lt_i32_e64 s11, 5, v44
	v_and_b32_e32 v45, 7, v36
	s_or_b32 vcc_lo, s0, vcc_lo
	v_cmp_eq_u32_e64 s12, 3, v44
	v_add_co_ci_u32_e32 v22, vcc_lo, 0, v22, vcc_lo
	s_or_b32 vcc_lo, s2, s1
	v_cmp_lt_i32_e64 s13, 5, v45
	v_add_co_ci_u32_e32 v24, vcc_lo, 0, v24, vcc_lo
	s_or_b32 vcc_lo, s4, s3
	v_cmp_eq_u32_e64 s14, 3, v45
	v_add_co_ci_u32_e32 v26, vcc_lo, 0, v26, vcc_lo
	s_or_b32 vcc_lo, s6, s5
	v_lshrrev_b32_e32 v36, 2, v36
	v_add_co_ci_u32_e32 v28, vcc_lo, 0, v28, vcc_lo
	s_or_b32 vcc_lo, s8, s7
	v_add_co_ci_u32_e32 v30, vcc_lo, 0, v30, vcc_lo
	s_or_b32 vcc_lo, s10, s9
	;; [unrolled: 2-line block ×4, first 2 shown]
	v_add_co_ci_u32_e32 v36, vcc_lo, 0, v36, vcc_lo
	v_cmp_gt_i32_e32 vcc_lo, 31, v23
	v_cndmask_b32_e32 v22, 0x7c00, v22, vcc_lo
	v_cmp_gt_i32_e32 vcc_lo, 31, v25
	v_cndmask_b32_e32 v24, 0x7c00, v24, vcc_lo
	;; [unrolled: 2-line block ×8, first 2 shown]
	v_cmp_eq_u32_e32 vcc_lo, 0x40f, v23
	v_cndmask_b32_e32 v2, v22, v2, vcc_lo
	v_cmp_eq_u32_e32 vcc_lo, 0x40f, v25
	v_and_or_b32 v2, 0x8000, v3, v2
	v_cndmask_b32_e32 v4, v24, v4, vcc_lo
	v_cmp_eq_u32_e32 vcc_lo, 0x40f, v27
	v_and_or_b32 v4, 0x8000, v5, v4
	;; [unrolled: 3-line block ×5, first 2 shown]
	v_cndmask_b32_e32 v12, v32, v12, vcc_lo
	v_cmp_eq_u32_e32 vcc_lo, 0x40f, v35
	v_and_b32_e32 v10, 0xffff, v2
	v_and_b32_e32 v11, 0xffff, v3
	;; [unrolled: 1-line block ×3, first 2 shown]
	v_and_or_b32 v7, 0x8000, v13, v12
	v_cndmask_b32_e32 v14, v34, v14, vcc_lo
	v_cmp_eq_u32_e32 vcc_lo, 0x40f, v37
	v_lshl_or_b32 v4, v4, 16, v10
	v_lshl_or_b32 v5, v5, 16, v11
	;; [unrolled: 1-line block ×3, first 2 shown]
	v_and_or_b32 v8, 0x8000, v15, v14
	v_cndmask_b32_e32 v16, v36, v16, vcc_lo
	v_add_co_u32 v2, vcc_lo, v20, s16
	v_add_co_ci_u32_e32 v3, vcc_lo, s17, v21, vcc_lo
	v_and_or_b32 v9, 0x8000, v17, v16
	v_and_b32_e32 v8, 0xffff, v8
	v_lshl_or_b32 v7, v9, 16, v8
	global_store_dword v[0:1], v4, off
	global_store_dword v[18:19], v5, off
	;; [unrolled: 1-line block ×4, first 2 shown]
.LBB0_39:
	s_endpgm
	.section	.rodata,"a",@progbits
	.p2align	6, 0x0
	.amdhsa_kernel bluestein_single_fwd_len1584_dim1_half_op_CI_CI
		.amdhsa_group_segment_fixed_size 6336
		.amdhsa_private_segment_fixed_size 0
		.amdhsa_kernarg_size 104
		.amdhsa_user_sgpr_count 6
		.amdhsa_user_sgpr_private_segment_buffer 1
		.amdhsa_user_sgpr_dispatch_ptr 0
		.amdhsa_user_sgpr_queue_ptr 0
		.amdhsa_user_sgpr_kernarg_segment_ptr 1
		.amdhsa_user_sgpr_dispatch_id 0
		.amdhsa_user_sgpr_flat_scratch_init 0
		.amdhsa_user_sgpr_private_segment_size 0
		.amdhsa_wavefront_size32 1
		.amdhsa_uses_dynamic_stack 0
		.amdhsa_system_sgpr_private_segment_wavefront_offset 0
		.amdhsa_system_sgpr_workgroup_id_x 1
		.amdhsa_system_sgpr_workgroup_id_y 0
		.amdhsa_system_sgpr_workgroup_id_z 0
		.amdhsa_system_sgpr_workgroup_info 0
		.amdhsa_system_vgpr_workitem_id 0
		.amdhsa_next_free_vgpr 164
		.amdhsa_next_free_sgpr 18
		.amdhsa_reserve_vcc 1
		.amdhsa_reserve_flat_scratch 0
		.amdhsa_float_round_mode_32 0
		.amdhsa_float_round_mode_16_64 0
		.amdhsa_float_denorm_mode_32 3
		.amdhsa_float_denorm_mode_16_64 3
		.amdhsa_dx10_clamp 1
		.amdhsa_ieee_mode 1
		.amdhsa_fp16_overflow 0
		.amdhsa_workgroup_processor_mode 1
		.amdhsa_memory_ordered 1
		.amdhsa_forward_progress 0
		.amdhsa_shared_vgpr_count 0
		.amdhsa_exception_fp_ieee_invalid_op 0
		.amdhsa_exception_fp_denorm_src 0
		.amdhsa_exception_fp_ieee_div_zero 0
		.amdhsa_exception_fp_ieee_overflow 0
		.amdhsa_exception_fp_ieee_underflow 0
		.amdhsa_exception_fp_ieee_inexact 0
		.amdhsa_exception_int_div_zero 0
	.end_amdhsa_kernel
	.text
.Lfunc_end0:
	.size	bluestein_single_fwd_len1584_dim1_half_op_CI_CI, .Lfunc_end0-bluestein_single_fwd_len1584_dim1_half_op_CI_CI
                                        ; -- End function
	.section	.AMDGPU.csdata,"",@progbits
; Kernel info:
; codeLenInByte = 21408
; NumSgprs: 20
; NumVgprs: 164
; ScratchSize: 0
; MemoryBound: 0
; FloatMode: 240
; IeeeMode: 1
; LDSByteSize: 6336 bytes/workgroup (compile time only)
; SGPRBlocks: 2
; VGPRBlocks: 20
; NumSGPRsForWavesPerEU: 20
; NumVGPRsForWavesPerEU: 164
; Occupancy: 5
; WaveLimiterHint : 1
; COMPUTE_PGM_RSRC2:SCRATCH_EN: 0
; COMPUTE_PGM_RSRC2:USER_SGPR: 6
; COMPUTE_PGM_RSRC2:TRAP_HANDLER: 0
; COMPUTE_PGM_RSRC2:TGID_X_EN: 1
; COMPUTE_PGM_RSRC2:TGID_Y_EN: 0
; COMPUTE_PGM_RSRC2:TGID_Z_EN: 0
; COMPUTE_PGM_RSRC2:TIDIG_COMP_CNT: 0
	.text
	.p2alignl 6, 3214868480
	.fill 48, 4, 3214868480
	.type	__hip_cuid_36e894012bb978ce,@object ; @__hip_cuid_36e894012bb978ce
	.section	.bss,"aw",@nobits
	.globl	__hip_cuid_36e894012bb978ce
__hip_cuid_36e894012bb978ce:
	.byte	0                               ; 0x0
	.size	__hip_cuid_36e894012bb978ce, 1

	.ident	"AMD clang version 19.0.0git (https://github.com/RadeonOpenCompute/llvm-project roc-6.4.0 25133 c7fe45cf4b819c5991fe208aaa96edf142730f1d)"
	.section	".note.GNU-stack","",@progbits
	.addrsig
	.addrsig_sym __hip_cuid_36e894012bb978ce
	.amdgpu_metadata
---
amdhsa.kernels:
  - .args:
      - .actual_access:  read_only
        .address_space:  global
        .offset:         0
        .size:           8
        .value_kind:     global_buffer
      - .actual_access:  read_only
        .address_space:  global
        .offset:         8
        .size:           8
        .value_kind:     global_buffer
      - .actual_access:  read_only
        .address_space:  global
        .offset:         16
        .size:           8
        .value_kind:     global_buffer
      - .actual_access:  read_only
        .address_space:  global
        .offset:         24
        .size:           8
        .value_kind:     global_buffer
      - .actual_access:  read_only
        .address_space:  global
        .offset:         32
        .size:           8
        .value_kind:     global_buffer
      - .offset:         40
        .size:           8
        .value_kind:     by_value
      - .address_space:  global
        .offset:         48
        .size:           8
        .value_kind:     global_buffer
      - .address_space:  global
        .offset:         56
        .size:           8
        .value_kind:     global_buffer
      - .address_space:  global
        .offset:         64
        .size:           8
        .value_kind:     global_buffer
      - .address_space:  global
        .offset:         72
        .size:           8
        .value_kind:     global_buffer
      - .offset:         80
        .size:           4
        .value_kind:     by_value
      - .address_space:  global
        .offset:         88
        .size:           8
        .value_kind:     global_buffer
      - .address_space:  global
        .offset:         96
        .size:           8
        .value_kind:     global_buffer
    .group_segment_fixed_size: 6336
    .kernarg_segment_align: 8
    .kernarg_segment_size: 104
    .language:       OpenCL C
    .language_version:
      - 2
      - 0
    .max_flat_workgroup_size: 176
    .name:           bluestein_single_fwd_len1584_dim1_half_op_CI_CI
    .private_segment_fixed_size: 0
    .sgpr_count:     20
    .sgpr_spill_count: 0
    .symbol:         bluestein_single_fwd_len1584_dim1_half_op_CI_CI.kd
    .uniform_work_group_size: 1
    .uses_dynamic_stack: false
    .vgpr_count:     164
    .vgpr_spill_count: 0
    .wavefront_size: 32
    .workgroup_processor_mode: 1
amdhsa.target:   amdgcn-amd-amdhsa--gfx1030
amdhsa.version:
  - 1
  - 2
...

	.end_amdgpu_metadata
